;; amdgpu-corpus repo=ROCm/rocSPARSE kind=compiled arch=gfx1100 opt=O3
	.text
	.amdgcn_target "amdgcn-amd-amdhsa--gfx1100"
	.amdhsa_code_object_version 6
	.section	.text._ZN9rocsparseL39csr2bsr_nnz_block_dim_equals_one_kernelILj256EiiEEvT1_21rocsparse_index_base_PKT0_S2_PS3_S6_,"axG",@progbits,_ZN9rocsparseL39csr2bsr_nnz_block_dim_equals_one_kernelILj256EiiEEvT1_21rocsparse_index_base_PKT0_S2_PS3_S6_,comdat
	.globl	_ZN9rocsparseL39csr2bsr_nnz_block_dim_equals_one_kernelILj256EiiEEvT1_21rocsparse_index_base_PKT0_S2_PS3_S6_ ; -- Begin function _ZN9rocsparseL39csr2bsr_nnz_block_dim_equals_one_kernelILj256EiiEEvT1_21rocsparse_index_base_PKT0_S2_PS3_S6_
	.p2align	8
	.type	_ZN9rocsparseL39csr2bsr_nnz_block_dim_equals_one_kernelILj256EiiEEvT1_21rocsparse_index_base_PKT0_S2_PS3_S6_,@function
_ZN9rocsparseL39csr2bsr_nnz_block_dim_equals_one_kernelILj256EiiEEvT1_21rocsparse_index_base_PKT0_S2_PS3_S6_: ; @_ZN9rocsparseL39csr2bsr_nnz_block_dim_equals_one_kernelILj256EiiEEvT1_21rocsparse_index_base_PKT0_S2_PS3_S6_
; %bb.0:
	s_clause 0x1
	s_load_b32 s2, s[0:1], 0x34
	s_load_b128 s[4:7], s[0:1], 0x0
	s_waitcnt lgkmcnt(0)
	s_and_b32 s2, s2, 0xffff
	s_delay_alu instid0(SALU_CYCLE_1) | instskip(SKIP_1) | instid1(VALU_DEP_1)
	v_mad_u64_u32 v[1:2], null, s15, s2, v[0:1]
	s_mov_b32 s2, exec_lo
	v_cmpx_ge_i32_e64 s4, v1
	s_cbranch_execz .LBB0_2
; %bb.1:
	v_ashrrev_i32_e32 v2, 31, v1
	s_delay_alu instid0(VALU_DEP_1) | instskip(NEXT) | instid1(VALU_DEP_1)
	v_lshlrev_b64 v[2:3], 2, v[1:2]
	v_add_co_u32 v4, vcc_lo, s6, v2
	s_delay_alu instid0(VALU_DEP_2)
	v_add_co_ci_u32_e32 v5, vcc_lo, s7, v3, vcc_lo
	global_load_b32 v0, v[4:5], off
	s_clause 0x1
	s_load_b32 s3, s[0:1], 0x10
	s_load_b64 s[8:9], s[0:1], 0x18
	s_waitcnt lgkmcnt(0)
	s_sub_i32 s3, s3, s5
	v_add_co_u32 v2, vcc_lo, s8, v2
	v_add_co_ci_u32_e32 v3, vcc_lo, s9, v3, vcc_lo
	s_waitcnt vmcnt(0)
	v_add_nc_u32_e32 v0, s3, v0
	global_store_b32 v[2:3], v0, off
.LBB0_2:
	s_or_b32 exec_lo, exec_lo, s2
	s_delay_alu instid0(SALU_CYCLE_1)
	s_mov_b32 s2, exec_lo
	v_cmpx_eq_u32_e32 0, v1
	s_cbranch_execz .LBB0_4
; %bb.3:
	s_ashr_i32 s5, s4, 31
	s_delay_alu instid0(SALU_CYCLE_1) | instskip(NEXT) | instid1(SALU_CYCLE_1)
	s_lshl_b64 s[2:3], s[4:5], 2
	s_add_u32 s2, s6, s2
	s_addc_u32 s3, s7, s3
	s_clause 0x1
	s_load_b32 s2, s[2:3], 0x0
	s_load_b32 s3, s[6:7], 0x0
	s_load_b64 s[0:1], s[0:1], 0x20
	s_waitcnt lgkmcnt(0)
	s_sub_i32 s2, s2, s3
	s_delay_alu instid0(SALU_CYCLE_1)
	v_dual_mov_b32 v0, 0 :: v_dual_mov_b32 v1, s2
	global_store_b32 v0, v1, s[0:1]
.LBB0_4:
	s_nop 0
	s_sendmsg sendmsg(MSG_DEALLOC_VGPRS)
	s_endpgm
	.section	.rodata,"a",@progbits
	.p2align	6, 0x0
	.amdhsa_kernel _ZN9rocsparseL39csr2bsr_nnz_block_dim_equals_one_kernelILj256EiiEEvT1_21rocsparse_index_base_PKT0_S2_PS3_S6_
		.amdhsa_group_segment_fixed_size 0
		.amdhsa_private_segment_fixed_size 0
		.amdhsa_kernarg_size 296
		.amdhsa_user_sgpr_count 15
		.amdhsa_user_sgpr_dispatch_ptr 0
		.amdhsa_user_sgpr_queue_ptr 0
		.amdhsa_user_sgpr_kernarg_segment_ptr 1
		.amdhsa_user_sgpr_dispatch_id 0
		.amdhsa_user_sgpr_private_segment_size 0
		.amdhsa_wavefront_size32 1
		.amdhsa_uses_dynamic_stack 0
		.amdhsa_enable_private_segment 0
		.amdhsa_system_sgpr_workgroup_id_x 1
		.amdhsa_system_sgpr_workgroup_id_y 0
		.amdhsa_system_sgpr_workgroup_id_z 0
		.amdhsa_system_sgpr_workgroup_info 0
		.amdhsa_system_vgpr_workitem_id 0
		.amdhsa_next_free_vgpr 6
		.amdhsa_next_free_sgpr 16
		.amdhsa_reserve_vcc 1
		.amdhsa_float_round_mode_32 0
		.amdhsa_float_round_mode_16_64 0
		.amdhsa_float_denorm_mode_32 3
		.amdhsa_float_denorm_mode_16_64 3
		.amdhsa_dx10_clamp 1
		.amdhsa_ieee_mode 1
		.amdhsa_fp16_overflow 0
		.amdhsa_workgroup_processor_mode 1
		.amdhsa_memory_ordered 1
		.amdhsa_forward_progress 0
		.amdhsa_shared_vgpr_count 0
		.amdhsa_exception_fp_ieee_invalid_op 0
		.amdhsa_exception_fp_denorm_src 0
		.amdhsa_exception_fp_ieee_div_zero 0
		.amdhsa_exception_fp_ieee_overflow 0
		.amdhsa_exception_fp_ieee_underflow 0
		.amdhsa_exception_fp_ieee_inexact 0
		.amdhsa_exception_int_div_zero 0
	.end_amdhsa_kernel
	.section	.text._ZN9rocsparseL39csr2bsr_nnz_block_dim_equals_one_kernelILj256EiiEEvT1_21rocsparse_index_base_PKT0_S2_PS3_S6_,"axG",@progbits,_ZN9rocsparseL39csr2bsr_nnz_block_dim_equals_one_kernelILj256EiiEEvT1_21rocsparse_index_base_PKT0_S2_PS3_S6_,comdat
.Lfunc_end0:
	.size	_ZN9rocsparseL39csr2bsr_nnz_block_dim_equals_one_kernelILj256EiiEEvT1_21rocsparse_index_base_PKT0_S2_PS3_S6_, .Lfunc_end0-_ZN9rocsparseL39csr2bsr_nnz_block_dim_equals_one_kernelILj256EiiEEvT1_21rocsparse_index_base_PKT0_S2_PS3_S6_
                                        ; -- End function
	.section	.AMDGPU.csdata,"",@progbits
; Kernel info:
; codeLenInByte = 264
; NumSgprs: 18
; NumVgprs: 6
; ScratchSize: 0
; MemoryBound: 0
; FloatMode: 240
; IeeeMode: 1
; LDSByteSize: 0 bytes/workgroup (compile time only)
; SGPRBlocks: 2
; VGPRBlocks: 0
; NumSGPRsForWavesPerEU: 18
; NumVGPRsForWavesPerEU: 6
; Occupancy: 16
; WaveLimiterHint : 0
; COMPUTE_PGM_RSRC2:SCRATCH_EN: 0
; COMPUTE_PGM_RSRC2:USER_SGPR: 15
; COMPUTE_PGM_RSRC2:TRAP_HANDLER: 0
; COMPUTE_PGM_RSRC2:TGID_X_EN: 1
; COMPUTE_PGM_RSRC2:TGID_Y_EN: 0
; COMPUTE_PGM_RSRC2:TGID_Z_EN: 0
; COMPUTE_PGM_RSRC2:TIDIG_COMP_CNT: 0
	.section	.text._ZN9rocsparseL39csr2bsr_nnz_block_dim_equals_one_kernelILj256EiiEEvT1_21rocsparse_index_base_PKT0_S2_PS3_,"axG",@progbits,_ZN9rocsparseL39csr2bsr_nnz_block_dim_equals_one_kernelILj256EiiEEvT1_21rocsparse_index_base_PKT0_S2_PS3_,comdat
	.globl	_ZN9rocsparseL39csr2bsr_nnz_block_dim_equals_one_kernelILj256EiiEEvT1_21rocsparse_index_base_PKT0_S2_PS3_ ; -- Begin function _ZN9rocsparseL39csr2bsr_nnz_block_dim_equals_one_kernelILj256EiiEEvT1_21rocsparse_index_base_PKT0_S2_PS3_
	.p2align	8
	.type	_ZN9rocsparseL39csr2bsr_nnz_block_dim_equals_one_kernelILj256EiiEEvT1_21rocsparse_index_base_PKT0_S2_PS3_,@function
_ZN9rocsparseL39csr2bsr_nnz_block_dim_equals_one_kernelILj256EiiEEvT1_21rocsparse_index_base_PKT0_S2_PS3_: ; @_ZN9rocsparseL39csr2bsr_nnz_block_dim_equals_one_kernelILj256EiiEEvT1_21rocsparse_index_base_PKT0_S2_PS3_
; %bb.0:
	s_load_b64 s[2:3], s[0:1], 0x0
	v_lshl_or_b32 v0, s15, 8, v0
	s_waitcnt lgkmcnt(0)
	s_delay_alu instid0(VALU_DEP_1)
	v_cmp_ge_i32_e32 vcc_lo, s2, v0
	s_and_saveexec_b32 s2, vcc_lo
	s_cbranch_execz .LBB1_2
; %bb.1:
	s_clause 0x1
	s_load_b64 s[4:5], s[0:1], 0x8
	s_load_b32 s2, s[0:1], 0x10
	v_ashrrev_i32_e32 v1, 31, v0
	s_load_b64 s[0:1], s[0:1], 0x18
	s_delay_alu instid0(VALU_DEP_1) | instskip(SKIP_1) | instid1(VALU_DEP_1)
	v_lshlrev_b64 v[0:1], 2, v[0:1]
	s_waitcnt lgkmcnt(0)
	v_add_co_u32 v2, vcc_lo, s4, v0
	s_delay_alu instid0(VALU_DEP_2)
	v_add_co_ci_u32_e32 v3, vcc_lo, s5, v1, vcc_lo
	s_sub_i32 s2, s2, s3
	v_add_co_u32 v0, vcc_lo, s0, v0
	global_load_b32 v2, v[2:3], off
	v_add_co_ci_u32_e32 v1, vcc_lo, s1, v1, vcc_lo
	s_waitcnt vmcnt(0)
	v_add_nc_u32_e32 v2, s2, v2
	global_store_b32 v[0:1], v2, off
.LBB1_2:
	s_nop 0
	s_sendmsg sendmsg(MSG_DEALLOC_VGPRS)
	s_endpgm
	.section	.rodata,"a",@progbits
	.p2align	6, 0x0
	.amdhsa_kernel _ZN9rocsparseL39csr2bsr_nnz_block_dim_equals_one_kernelILj256EiiEEvT1_21rocsparse_index_base_PKT0_S2_PS3_
		.amdhsa_group_segment_fixed_size 0
		.amdhsa_private_segment_fixed_size 0
		.amdhsa_kernarg_size 32
		.amdhsa_user_sgpr_count 15
		.amdhsa_user_sgpr_dispatch_ptr 0
		.amdhsa_user_sgpr_queue_ptr 0
		.amdhsa_user_sgpr_kernarg_segment_ptr 1
		.amdhsa_user_sgpr_dispatch_id 0
		.amdhsa_user_sgpr_private_segment_size 0
		.amdhsa_wavefront_size32 1
		.amdhsa_uses_dynamic_stack 0
		.amdhsa_enable_private_segment 0
		.amdhsa_system_sgpr_workgroup_id_x 1
		.amdhsa_system_sgpr_workgroup_id_y 0
		.amdhsa_system_sgpr_workgroup_id_z 0
		.amdhsa_system_sgpr_workgroup_info 0
		.amdhsa_system_vgpr_workitem_id 0
		.amdhsa_next_free_vgpr 4
		.amdhsa_next_free_sgpr 16
		.amdhsa_reserve_vcc 1
		.amdhsa_float_round_mode_32 0
		.amdhsa_float_round_mode_16_64 0
		.amdhsa_float_denorm_mode_32 3
		.amdhsa_float_denorm_mode_16_64 3
		.amdhsa_dx10_clamp 1
		.amdhsa_ieee_mode 1
		.amdhsa_fp16_overflow 0
		.amdhsa_workgroup_processor_mode 1
		.amdhsa_memory_ordered 1
		.amdhsa_forward_progress 0
		.amdhsa_shared_vgpr_count 0
		.amdhsa_exception_fp_ieee_invalid_op 0
		.amdhsa_exception_fp_denorm_src 0
		.amdhsa_exception_fp_ieee_div_zero 0
		.amdhsa_exception_fp_ieee_overflow 0
		.amdhsa_exception_fp_ieee_underflow 0
		.amdhsa_exception_fp_ieee_inexact 0
		.amdhsa_exception_int_div_zero 0
	.end_amdhsa_kernel
	.section	.text._ZN9rocsparseL39csr2bsr_nnz_block_dim_equals_one_kernelILj256EiiEEvT1_21rocsparse_index_base_PKT0_S2_PS3_,"axG",@progbits,_ZN9rocsparseL39csr2bsr_nnz_block_dim_equals_one_kernelILj256EiiEEvT1_21rocsparse_index_base_PKT0_S2_PS3_,comdat
.Lfunc_end1:
	.size	_ZN9rocsparseL39csr2bsr_nnz_block_dim_equals_one_kernelILj256EiiEEvT1_21rocsparse_index_base_PKT0_S2_PS3_, .Lfunc_end1-_ZN9rocsparseL39csr2bsr_nnz_block_dim_equals_one_kernelILj256EiiEEvT1_21rocsparse_index_base_PKT0_S2_PS3_
                                        ; -- End function
	.section	.AMDGPU.csdata,"",@progbits
; Kernel info:
; codeLenInByte = 152
; NumSgprs: 18
; NumVgprs: 4
; ScratchSize: 0
; MemoryBound: 0
; FloatMode: 240
; IeeeMode: 1
; LDSByteSize: 0 bytes/workgroup (compile time only)
; SGPRBlocks: 2
; VGPRBlocks: 0
; NumSGPRsForWavesPerEU: 18
; NumVGPRsForWavesPerEU: 4
; Occupancy: 16
; WaveLimiterHint : 0
; COMPUTE_PGM_RSRC2:SCRATCH_EN: 0
; COMPUTE_PGM_RSRC2:USER_SGPR: 15
; COMPUTE_PGM_RSRC2:TRAP_HANDLER: 0
; COMPUTE_PGM_RSRC2:TGID_X_EN: 1
; COMPUTE_PGM_RSRC2:TGID_Y_EN: 0
; COMPUTE_PGM_RSRC2:TGID_Z_EN: 0
; COMPUTE_PGM_RSRC2:TIDIG_COMP_CNT: 0
	.section	.text._ZN9rocsparseL46csr2bsr_nnz_wavefront_per_row_multipass_kernelILj256ELj16ELj4EiiEEvT3_S1_S1_S1_S1_21rocsparse_index_base_PKT2_PKS1_S2_PS3_,"axG",@progbits,_ZN9rocsparseL46csr2bsr_nnz_wavefront_per_row_multipass_kernelILj256ELj16ELj4EiiEEvT3_S1_S1_S1_S1_21rocsparse_index_base_PKT2_PKS1_S2_PS3_,comdat
	.globl	_ZN9rocsparseL46csr2bsr_nnz_wavefront_per_row_multipass_kernelILj256ELj16ELj4EiiEEvT3_S1_S1_S1_S1_21rocsparse_index_base_PKT2_PKS1_S2_PS3_ ; -- Begin function _ZN9rocsparseL46csr2bsr_nnz_wavefront_per_row_multipass_kernelILj256ELj16ELj4EiiEEvT3_S1_S1_S1_S1_21rocsparse_index_base_PKT2_PKS1_S2_PS3_
	.p2align	8
	.type	_ZN9rocsparseL46csr2bsr_nnz_wavefront_per_row_multipass_kernelILj256ELj16ELj4EiiEEvT3_S1_S1_S1_S1_21rocsparse_index_base_PKT2_PKS1_S2_PS3_,@function
_ZN9rocsparseL46csr2bsr_nnz_wavefront_per_row_multipass_kernelILj256ELj16ELj4EiiEEvT3_S1_S1_S1_S1_21rocsparse_index_base_PKT2_PKS1_S2_PS3_: ; @_ZN9rocsparseL46csr2bsr_nnz_wavefront_per_row_multipass_kernelILj256ELj16ELj4EiiEEvT3_S1_S1_S1_S1_21rocsparse_index_base_PKT2_PKS1_S2_PS3_
; %bb.0:
	s_clause 0x1
	s_load_b128 s[4:7], s[0:1], 0x8
	s_load_b32 s2, s[0:1], 0x0
	v_lshrrev_b32_e32 v5, 4, v0
	v_bfe_u32 v7, v0, 2, 2
	s_load_b64 s[8:9], s[0:1], 0x18
	v_dual_mov_b32 v6, 0 :: v_dual_mov_b32 v17, 0
	s_delay_alu instid0(VALU_DEP_3)
	v_lshl_or_b32 v1, s15, 4, v5
	v_lshlrev_b32_e32 v4, 2, v5
	ds_store_b32 v4, v6
	s_waitcnt lgkmcnt(0)
	s_barrier
	buffer_gl0_inv
	v_mad_u64_u32 v[2:3], null, v1, s6, v[7:8]
	s_delay_alu instid0(VALU_DEP_1) | instskip(SKIP_1) | instid1(VALU_DEP_1)
	v_cmp_gt_i32_e32 vcc_lo, s2, v2
	v_cmp_gt_i32_e64 s2, s6, v7
	s_and_b32 s2, s2, vcc_lo
	s_delay_alu instid0(SALU_CYCLE_1)
	s_and_saveexec_b32 s3, s2
	s_cbranch_execz .LBB2_2
; %bb.1:
	v_ashrrev_i32_e32 v3, 31, v2
	s_delay_alu instid0(VALU_DEP_1) | instskip(NEXT) | instid1(VALU_DEP_1)
	v_lshlrev_b64 v[7:8], 2, v[2:3]
	v_add_co_u32 v7, vcc_lo, s8, v7
	s_delay_alu instid0(VALU_DEP_2)
	v_add_co_ci_u32_e32 v8, vcc_lo, s9, v8, vcc_lo
	global_load_b32 v3, v[7:8], off
	s_waitcnt vmcnt(0)
	v_subrev_nc_u32_e32 v17, s7, v3
.LBB2_2:
	s_or_b32 exec_lo, exec_lo, s3
	s_and_saveexec_b32 s3, s2
	s_cbranch_execz .LBB2_4
; %bb.3:
	v_ashrrev_i32_e32 v3, 31, v2
	s_delay_alu instid0(VALU_DEP_1) | instskip(NEXT) | instid1(VALU_DEP_1)
	v_lshlrev_b64 v[2:3], 2, v[2:3]
	v_add_co_u32 v2, vcc_lo, s8, v2
	s_delay_alu instid0(VALU_DEP_2)
	v_add_co_ci_u32_e32 v3, vcc_lo, s9, v3, vcc_lo
	global_load_b32 v2, v[2:3], off offset:4
	s_waitcnt vmcnt(0)
	v_subrev_nc_u32_e32 v6, s7, v2
.LBB2_4:
	s_or_b32 exec_lo, exec_lo, s3
	v_and_b32_e32 v7, 15, v0
	s_cmp_lt_i32 s5, 1
	s_delay_alu instid0(VALU_DEP_1)
	v_cmp_eq_u32_e32 vcc_lo, 0, v7
	s_cbranch_scc1 .LBB2_18
; %bb.5:
	s_abs_i32 s10, s6
	v_mbcnt_lo_u32_b32 v3, -1, 0
	v_cvt_f32_u32_e32 v2, s10
	s_sub_i32 s2, 0, s10
	s_load_b64 s[8:9], s[0:1], 0x20
	v_dual_mov_b32 v9, 1 :: v_dual_and_b32 v0, 3, v0
	s_delay_alu instid0(VALU_DEP_2)
	v_rcp_iflag_f32_e32 v2, v2
	v_xor_b32_e32 v10, 2, v3
	v_xor_b32_e32 v11, 1, v3
	;; [unrolled: 1-line block ×4, first 2 shown]
	v_lshlrev_b32_e32 v12, 2, v3
	s_mov_b32 s11, 0
	s_ashr_i32 s6, s6, 31
	s_waitcnt_depctr 0xfff
	v_mul_f32_e32 v2, 0x4f7ffffe, v2
	s_delay_alu instid0(VALU_DEP_1) | instskip(NEXT) | instid1(VALU_DEP_1)
	v_cvt_u32_f32_e32 v2, v2
	v_mul_lo_u32 v15, s2, v2
	v_cmp_gt_i32_e64 s2, 32, v10
	s_delay_alu instid0(VALU_DEP_1) | instskip(SKIP_1) | instid1(VALU_DEP_4)
	v_cndmask_b32_e64 v16, v3, v10, s2
	v_cmp_gt_i32_e64 s2, 32, v11
	v_mul_hi_u32 v20, v2, v15
	s_delay_alu instid0(VALU_DEP_2) | instskip(SKIP_2) | instid1(VALU_DEP_2)
	v_cndmask_b32_e64 v18, v3, v11, s2
	v_cmp_gt_i32_e64 s2, 32, v13
	v_mov_b32_e32 v8, 0
	v_cndmask_b32_e64 v19, v3, v13, s2
	s_delay_alu instid0(VALU_DEP_4) | instskip(SKIP_1) | instid1(VALU_DEP_1)
	v_lshlrev_b32_e32 v13, 2, v18
	v_cmp_gt_i32_e64 s2, 32, v14
	v_cndmask_b32_e64 v3, v3, v14, s2
	s_delay_alu instid0(VALU_DEP_4)
	v_dual_mov_b32 v19, 0 :: v_dual_lshlrev_b32 v14, 2, v19
	v_or_b32_e32 v10, 12, v12
	v_or_b32_e32 v11, 60, v12
	v_lshlrev_b32_e32 v12, 2, v16
	v_lshlrev_b32_e32 v15, 2, v3
	v_add_nc_u32_e32 v16, v2, v20
	s_branch .LBB2_7
.LBB2_6:                                ;   in Loop: Header=BB2_7 Depth=1
	s_or_b32 exec_lo, exec_lo, s2
	ds_bpermute_b32 v2, v14, v18
	s_waitcnt lgkmcnt(0)
	buffer_gl0_inv
	v_min_i32_e32 v2, v2, v18
	ds_bpermute_b32 v3, v15, v2
	s_waitcnt lgkmcnt(0)
	v_min_i32_e32 v2, v3, v2
	ds_bpermute_b32 v3, v12, v2
	s_waitcnt lgkmcnt(0)
	;; [unrolled: 3-line block ×4, first 2 shown]
	v_cmp_le_i32_e64 s2, s5, v19
	s_delay_alu instid0(VALU_DEP_1) | instskip(NEXT) | instid1(SALU_CYCLE_1)
	s_or_b32 s11, s2, s11
	s_and_not1_b32 exec_lo, exec_lo, s11
	s_cbranch_execz .LBB2_17
.LBB2_7:                                ; =>This Loop Header: Depth=1
                                        ;     Child Loop BB2_10 Depth 2
	v_dual_mov_b32 v17, v6 :: v_dual_add_nc_u32 v2, v17, v0
	v_mov_b32_e32 v18, s5
	s_mov_b32 s12, exec_lo
	ds_store_b8 v5, v8 offset:64
	s_waitcnt lgkmcnt(0)
	buffer_gl0_inv
	v_cmpx_lt_i32_e64 v2, v6
	s_cbranch_execz .LBB2_15
; %bb.8:                                ;   in Loop: Header=BB2_7 Depth=1
	v_dual_mov_b32 v18, s5 :: v_dual_mov_b32 v17, v6
	s_mov_b32 s13, 0
	s_branch .LBB2_10
.LBB2_9:                                ;   in Loop: Header=BB2_10 Depth=2
	s_or_b32 exec_lo, exec_lo, s3
	v_add_nc_u32_e32 v2, 4, v2
	s_xor_b32 s2, s2, -1
	s_delay_alu instid0(VALU_DEP_1) | instskip(NEXT) | instid1(VALU_DEP_1)
	v_cmp_ge_i32_e64 s3, v2, v6
	s_or_b32 s2, s2, s3
	s_delay_alu instid0(SALU_CYCLE_1) | instskip(NEXT) | instid1(SALU_CYCLE_1)
	s_and_b32 s2, exec_lo, s2
	s_or_b32 s13, s2, s13
	s_delay_alu instid0(SALU_CYCLE_1)
	s_and_not1_b32 exec_lo, exec_lo, s13
	s_cbranch_execz .LBB2_14
.LBB2_10:                               ;   Parent Loop BB2_7 Depth=1
                                        ; =>  This Inner Loop Header: Depth=2
	v_ashrrev_i32_e32 v3, 31, v2
	s_delay_alu instid0(VALU_DEP_1) | instskip(NEXT) | instid1(VALU_DEP_1)
	v_lshlrev_b64 v[20:21], 2, v[2:3]
	v_add_co_u32 v20, s2, s8, v20
	s_delay_alu instid0(VALU_DEP_1) | instskip(SKIP_3) | instid1(VALU_DEP_1)
	v_add_co_ci_u32_e64 v21, s2, s9, v21, s2
	global_load_b32 v3, v[20:21], off
	s_waitcnt vmcnt(0)
	v_subrev_nc_u32_e32 v3, s7, v3
	v_sub_nc_u32_e32 v20, 0, v3
	s_delay_alu instid0(VALU_DEP_1) | instskip(SKIP_1) | instid1(VALU_DEP_2)
	v_max_i32_e32 v20, v3, v20
	v_ashrrev_i32_e32 v3, 31, v3
	v_mul_hi_u32 v21, v20, v16
	s_delay_alu instid0(VALU_DEP_2) | instskip(NEXT) | instid1(VALU_DEP_2)
	v_xor_b32_e32 v3, s6, v3
	v_mul_lo_u32 v22, v21, s10
	s_delay_alu instid0(VALU_DEP_1) | instskip(SKIP_1) | instid1(VALU_DEP_2)
	v_sub_nc_u32_e32 v20, v20, v22
	v_add_nc_u32_e32 v22, 1, v21
	v_subrev_nc_u32_e32 v23, s10, v20
	v_cmp_le_u32_e64 s2, s10, v20
	s_delay_alu instid0(VALU_DEP_1) | instskip(NEXT) | instid1(VALU_DEP_3)
	v_cndmask_b32_e64 v21, v21, v22, s2
	v_cndmask_b32_e64 v20, v20, v23, s2
	s_delay_alu instid0(VALU_DEP_2) | instskip(NEXT) | instid1(VALU_DEP_2)
	v_add_nc_u32_e32 v22, 1, v21
	v_cmp_le_u32_e64 s2, s10, v20
	s_delay_alu instid0(VALU_DEP_1) | instskip(NEXT) | instid1(VALU_DEP_1)
	v_cndmask_b32_e64 v20, v21, v22, s2
	v_xor_b32_e32 v20, v20, v3
	s_delay_alu instid0(VALU_DEP_1) | instskip(SKIP_1) | instid1(VALU_DEP_2)
	v_sub_nc_u32_e32 v20, v20, v3
	v_mov_b32_e32 v3, v17
	v_cmp_eq_u32_e64 s2, v20, v19
	v_cmp_ne_u32_e64 s3, v20, v19
	s_delay_alu instid0(VALU_DEP_1) | instskip(NEXT) | instid1(SALU_CYCLE_1)
	s_and_saveexec_b32 s14, s3
	s_xor_b32 s3, exec_lo, s14
; %bb.11:                               ;   in Loop: Header=BB2_10 Depth=2
	v_min_i32_e32 v18, v20, v18
                                        ; implicit-def: $vgpr3
; %bb.12:                               ;   in Loop: Header=BB2_10 Depth=2
	s_or_saveexec_b32 s3, s3
	v_mov_b32_e32 v17, v2
	s_xor_b32 exec_lo, exec_lo, s3
	s_cbranch_execz .LBB2_9
; %bb.13:                               ;   in Loop: Header=BB2_10 Depth=2
	v_mov_b32_e32 v17, v3
	ds_store_b8 v5, v9 offset:64
	s_branch .LBB2_9
.LBB2_14:                               ;   in Loop: Header=BB2_7 Depth=1
	s_or_b32 exec_lo, exec_lo, s13
.LBB2_15:                               ;   in Loop: Header=BB2_7 Depth=1
	s_delay_alu instid0(SALU_CYCLE_1)
	s_or_b32 exec_lo, exec_lo, s12
	ds_bpermute_b32 v2, v12, v17
	s_waitcnt lgkmcnt(0)
	buffer_gl0_inv
	ds_load_u8 v19, v5 offset:64
	v_min_i32_e32 v2, v2, v17
	ds_bpermute_b32 v3, v13, v2
	s_waitcnt lgkmcnt(0)
	v_min_i32_e32 v2, v3, v2
	ds_bpermute_b32 v17, v10, v2
	v_and_b32_e32 v2, 1, v19
	s_delay_alu instid0(VALU_DEP_1) | instskip(NEXT) | instid1(VALU_DEP_1)
	v_cmp_eq_u32_e64 s2, 1, v2
	s_and_b32 s3, vcc_lo, s2
	s_delay_alu instid0(SALU_CYCLE_1)
	s_and_saveexec_b32 s2, s3
	s_cbranch_execz .LBB2_6
; %bb.16:                               ;   in Loop: Header=BB2_7 Depth=1
	ds_load_b32 v2, v4
	s_waitcnt lgkmcnt(0)
	v_add_nc_u32_e32 v2, 1, v2
	ds_store_b32 v4, v2
	s_branch .LBB2_6
.LBB2_17:
	s_or_b32 exec_lo, exec_lo, s11
.LBB2_18:
	s_delay_alu instid0(SALU_CYCLE_1)
	s_mov_b32 s2, exec_lo
	v_cmpx_eq_u32_e32 0, v7
	s_cbranch_execz .LBB2_21
; %bb.19:
	s_clause 0x1
	s_load_b32 s2, s[0:1], 0x28
	s_load_b64 s[0:1], s[0:1], 0x30
	v_mov_b32_e32 v2, 0
	v_cmp_gt_u32_e32 vcc_lo, s4, v1
	s_waitcnt lgkmcnt(0)
	v_mov_b32_e32 v0, s2
	global_store_b32 v2, v0, s[0:1]
	s_and_b32 exec_lo, exec_lo, vcc_lo
	s_cbranch_execz .LBB2_21
; %bb.20:
	ds_load_b32 v3, v4
	v_lshlrev_b64 v[0:1], 2, v[1:2]
	s_delay_alu instid0(VALU_DEP_1) | instskip(NEXT) | instid1(VALU_DEP_2)
	v_add_co_u32 v0, vcc_lo, s0, v0
	v_add_co_ci_u32_e32 v1, vcc_lo, s1, v1, vcc_lo
	s_waitcnt lgkmcnt(0)
	global_store_b32 v[0:1], v3, off offset:4
.LBB2_21:
	s_nop 0
	s_sendmsg sendmsg(MSG_DEALLOC_VGPRS)
	s_endpgm
	.section	.rodata,"a",@progbits
	.p2align	6, 0x0
	.amdhsa_kernel _ZN9rocsparseL46csr2bsr_nnz_wavefront_per_row_multipass_kernelILj256ELj16ELj4EiiEEvT3_S1_S1_S1_S1_21rocsparse_index_base_PKT2_PKS1_S2_PS3_
		.amdhsa_group_segment_fixed_size 80
		.amdhsa_private_segment_fixed_size 0
		.amdhsa_kernarg_size 56
		.amdhsa_user_sgpr_count 15
		.amdhsa_user_sgpr_dispatch_ptr 0
		.amdhsa_user_sgpr_queue_ptr 0
		.amdhsa_user_sgpr_kernarg_segment_ptr 1
		.amdhsa_user_sgpr_dispatch_id 0
		.amdhsa_user_sgpr_private_segment_size 0
		.amdhsa_wavefront_size32 1
		.amdhsa_uses_dynamic_stack 0
		.amdhsa_enable_private_segment 0
		.amdhsa_system_sgpr_workgroup_id_x 1
		.amdhsa_system_sgpr_workgroup_id_y 0
		.amdhsa_system_sgpr_workgroup_id_z 0
		.amdhsa_system_sgpr_workgroup_info 0
		.amdhsa_system_vgpr_workitem_id 0
		.amdhsa_next_free_vgpr 24
		.amdhsa_next_free_sgpr 16
		.amdhsa_reserve_vcc 1
		.amdhsa_float_round_mode_32 0
		.amdhsa_float_round_mode_16_64 0
		.amdhsa_float_denorm_mode_32 3
		.amdhsa_float_denorm_mode_16_64 3
		.amdhsa_dx10_clamp 1
		.amdhsa_ieee_mode 1
		.amdhsa_fp16_overflow 0
		.amdhsa_workgroup_processor_mode 1
		.amdhsa_memory_ordered 1
		.amdhsa_forward_progress 0
		.amdhsa_shared_vgpr_count 0
		.amdhsa_exception_fp_ieee_invalid_op 0
		.amdhsa_exception_fp_denorm_src 0
		.amdhsa_exception_fp_ieee_div_zero 0
		.amdhsa_exception_fp_ieee_overflow 0
		.amdhsa_exception_fp_ieee_underflow 0
		.amdhsa_exception_fp_ieee_inexact 0
		.amdhsa_exception_int_div_zero 0
	.end_amdhsa_kernel
	.section	.text._ZN9rocsparseL46csr2bsr_nnz_wavefront_per_row_multipass_kernelILj256ELj16ELj4EiiEEvT3_S1_S1_S1_S1_21rocsparse_index_base_PKT2_PKS1_S2_PS3_,"axG",@progbits,_ZN9rocsparseL46csr2bsr_nnz_wavefront_per_row_multipass_kernelILj256ELj16ELj4EiiEEvT3_S1_S1_S1_S1_21rocsparse_index_base_PKT2_PKS1_S2_PS3_,comdat
.Lfunc_end2:
	.size	_ZN9rocsparseL46csr2bsr_nnz_wavefront_per_row_multipass_kernelILj256ELj16ELj4EiiEEvT3_S1_S1_S1_S1_21rocsparse_index_base_PKT2_PKS1_S2_PS3_, .Lfunc_end2-_ZN9rocsparseL46csr2bsr_nnz_wavefront_per_row_multipass_kernelILj256ELj16ELj4EiiEEvT3_S1_S1_S1_S1_21rocsparse_index_base_PKT2_PKS1_S2_PS3_
                                        ; -- End function
	.section	.AMDGPU.csdata,"",@progbits
; Kernel info:
; codeLenInByte = 1216
; NumSgprs: 18
; NumVgprs: 24
; ScratchSize: 0
; MemoryBound: 0
; FloatMode: 240
; IeeeMode: 1
; LDSByteSize: 80 bytes/workgroup (compile time only)
; SGPRBlocks: 2
; VGPRBlocks: 2
; NumSGPRsForWavesPerEU: 18
; NumVGPRsForWavesPerEU: 24
; Occupancy: 16
; WaveLimiterHint : 0
; COMPUTE_PGM_RSRC2:SCRATCH_EN: 0
; COMPUTE_PGM_RSRC2:USER_SGPR: 15
; COMPUTE_PGM_RSRC2:TRAP_HANDLER: 0
; COMPUTE_PGM_RSRC2:TGID_X_EN: 1
; COMPUTE_PGM_RSRC2:TGID_Y_EN: 0
; COMPUTE_PGM_RSRC2:TGID_Z_EN: 0
; COMPUTE_PGM_RSRC2:TIDIG_COMP_CNT: 0
	.section	.text._ZN9rocsparseL46csr2bsr_nnz_wavefront_per_row_multipass_kernelILj256ELj64ELj8EiiEEvT3_S1_S1_S1_S1_21rocsparse_index_base_PKT2_PKS1_S2_PS3_,"axG",@progbits,_ZN9rocsparseL46csr2bsr_nnz_wavefront_per_row_multipass_kernelILj256ELj64ELj8EiiEEvT3_S1_S1_S1_S1_21rocsparse_index_base_PKT2_PKS1_S2_PS3_,comdat
	.globl	_ZN9rocsparseL46csr2bsr_nnz_wavefront_per_row_multipass_kernelILj256ELj64ELj8EiiEEvT3_S1_S1_S1_S1_21rocsparse_index_base_PKT2_PKS1_S2_PS3_ ; -- Begin function _ZN9rocsparseL46csr2bsr_nnz_wavefront_per_row_multipass_kernelILj256ELj64ELj8EiiEEvT3_S1_S1_S1_S1_21rocsparse_index_base_PKT2_PKS1_S2_PS3_
	.p2align	8
	.type	_ZN9rocsparseL46csr2bsr_nnz_wavefront_per_row_multipass_kernelILj256ELj64ELj8EiiEEvT3_S1_S1_S1_S1_21rocsparse_index_base_PKT2_PKS1_S2_PS3_,@function
_ZN9rocsparseL46csr2bsr_nnz_wavefront_per_row_multipass_kernelILj256ELj64ELj8EiiEEvT3_S1_S1_S1_S1_21rocsparse_index_base_PKT2_PKS1_S2_PS3_: ; @_ZN9rocsparseL46csr2bsr_nnz_wavefront_per_row_multipass_kernelILj256ELj64ELj8EiiEEvT3_S1_S1_S1_S1_21rocsparse_index_base_PKT2_PKS1_S2_PS3_
; %bb.0:
	s_clause 0x1
	s_load_b128 s[4:7], s[0:1], 0x8
	s_load_b32 s2, s[0:1], 0x0
	v_lshrrev_b32_e32 v5, 6, v0
	v_bfe_u32 v7, v0, 3, 3
	s_load_b64 s[8:9], s[0:1], 0x18
	v_dual_mov_b32 v6, 0 :: v_dual_mov_b32 v19, 0
	s_delay_alu instid0(VALU_DEP_3)
	v_lshl_or_b32 v1, s15, 2, v5
	v_lshlrev_b32_e32 v4, 2, v5
	ds_store_b32 v4, v6
	s_waitcnt lgkmcnt(0)
	s_barrier
	buffer_gl0_inv
	v_mad_u64_u32 v[2:3], null, v1, s6, v[7:8]
	s_delay_alu instid0(VALU_DEP_1) | instskip(SKIP_1) | instid1(VALU_DEP_1)
	v_cmp_gt_i32_e32 vcc_lo, s2, v2
	v_cmp_gt_i32_e64 s2, s6, v7
	s_and_b32 s2, s2, vcc_lo
	s_delay_alu instid0(SALU_CYCLE_1)
	s_and_saveexec_b32 s3, s2
	s_cbranch_execz .LBB3_2
; %bb.1:
	v_ashrrev_i32_e32 v3, 31, v2
	s_delay_alu instid0(VALU_DEP_1) | instskip(NEXT) | instid1(VALU_DEP_1)
	v_lshlrev_b64 v[7:8], 2, v[2:3]
	v_add_co_u32 v7, vcc_lo, s8, v7
	s_delay_alu instid0(VALU_DEP_2)
	v_add_co_ci_u32_e32 v8, vcc_lo, s9, v8, vcc_lo
	global_load_b32 v3, v[7:8], off
	s_waitcnt vmcnt(0)
	v_subrev_nc_u32_e32 v19, s7, v3
.LBB3_2:
	s_or_b32 exec_lo, exec_lo, s3
	s_and_saveexec_b32 s3, s2
	s_cbranch_execz .LBB3_4
; %bb.3:
	v_ashrrev_i32_e32 v3, 31, v2
	s_delay_alu instid0(VALU_DEP_1) | instskip(NEXT) | instid1(VALU_DEP_1)
	v_lshlrev_b64 v[2:3], 2, v[2:3]
	v_add_co_u32 v2, vcc_lo, s8, v2
	s_delay_alu instid0(VALU_DEP_2)
	v_add_co_ci_u32_e32 v3, vcc_lo, s9, v3, vcc_lo
	global_load_b32 v2, v[2:3], off offset:4
	s_waitcnt vmcnt(0)
	v_subrev_nc_u32_e32 v6, s7, v2
.LBB3_4:
	s_or_b32 exec_lo, exec_lo, s3
	v_and_b32_e32 v7, 63, v0
	s_cmp_lt_i32 s5, 1
	s_delay_alu instid0(VALU_DEP_1)
	v_cmp_eq_u32_e32 vcc_lo, 0, v7
	s_cbranch_scc1 .LBB3_18
; %bb.5:
	v_mbcnt_lo_u32_b32 v3, -1, 0
	s_abs_i32 s10, s6
	s_load_b64 s[8:9], s[0:1], 0x20
	v_cvt_f32_u32_e32 v2, s10
	s_sub_i32 s3, 0, s10
	v_xor_b32_e32 v12, 4, v3
	v_xor_b32_e32 v13, 2, v3
	;; [unrolled: 1-line block ×3, first 2 shown]
	v_rcp_iflag_f32_e32 v2, v2
	v_or_b32_e32 v15, 32, v3
	v_cmp_gt_i32_e64 s2, 32, v12
	v_xor_b32_e32 v16, 16, v3
	v_xor_b32_e32 v17, 8, v3
	v_lshl_or_b32 v11, v3, 2, 28
	v_dual_mov_b32 v9, 0 :: v_dual_and_b32 v0, 7, v0
	v_cndmask_b32_e64 v12, v3, v12, s2
	v_cmp_gt_i32_e64 s2, 32, v13
	v_bfrev_b32_e32 v8, 0.5
	s_mov_b32 s11, 0
	s_delay_alu instid0(VALU_DEP_3) | instskip(NEXT) | instid1(VALU_DEP_3)
	v_dual_mov_b32 v21, 0 :: v_dual_lshlrev_b32 v12, 2, v12
	v_cndmask_b32_e64 v13, v3, v13, s2
	v_cmp_gt_i32_e64 s2, 32, v14
	v_mov_b32_e32 v10, 1
	s_ashr_i32 s6, s6, 31
	s_delay_alu instid0(VALU_DEP_3) | instskip(NEXT) | instid1(VALU_DEP_3)
	v_lshlrev_b32_e32 v13, 2, v13
	v_cndmask_b32_e64 v14, v3, v14, s2
	v_cmp_gt_i32_e64 s2, 32, v15
	s_delay_alu instid0(VALU_DEP_2) | instskip(NEXT) | instid1(VALU_DEP_2)
	v_lshlrev_b32_e32 v14, 2, v14
	v_cndmask_b32_e64 v15, v3, v15, s2
	v_mul_f32_e32 v2, 0x4f7ffffe, v2
	v_cmp_gt_i32_e64 s2, 32, v16
	s_delay_alu instid0(VALU_DEP_3) | instskip(NEXT) | instid1(VALU_DEP_3)
	v_lshlrev_b32_e32 v15, 2, v15
	v_cvt_u32_f32_e32 v2, v2
	s_delay_alu instid0(VALU_DEP_3) | instskip(SKIP_1) | instid1(VALU_DEP_3)
	v_cndmask_b32_e64 v16, v3, v16, s2
	v_cmp_gt_i32_e64 s2, 32, v17
	v_mul_lo_u32 v18, s3, v2
	s_delay_alu instid0(VALU_DEP_3) | instskip(NEXT) | instid1(VALU_DEP_3)
	v_lshlrev_b32_e32 v16, 2, v16
	v_cndmask_b32_e64 v3, v3, v17, s2
	s_delay_alu instid0(VALU_DEP_1) | instskip(NEXT) | instid1(VALU_DEP_4)
	v_lshlrev_b32_e32 v17, 2, v3
	v_mul_hi_u32 v18, v2, v18
	s_delay_alu instid0(VALU_DEP_1)
	v_add_nc_u32_e32 v18, v2, v18
	s_branch .LBB3_7
.LBB3_6:                                ;   in Loop: Header=BB3_7 Depth=1
	s_or_b32 exec_lo, exec_lo, s2
	ds_bpermute_b32 v2, v15, v20
	s_waitcnt lgkmcnt(0)
	buffer_gl0_inv
	v_min_i32_e32 v2, v2, v20
	ds_bpermute_b32 v3, v16, v2
	s_waitcnt lgkmcnt(0)
	v_min_i32_e32 v2, v3, v2
	ds_bpermute_b32 v3, v17, v2
	s_waitcnt lgkmcnt(0)
	;; [unrolled: 3-line block ×6, first 2 shown]
	v_cmp_le_i32_e64 s2, s5, v21
	s_delay_alu instid0(VALU_DEP_1) | instskip(NEXT) | instid1(SALU_CYCLE_1)
	s_or_b32 s11, s2, s11
	s_and_not1_b32 exec_lo, exec_lo, s11
	s_cbranch_execz .LBB3_17
.LBB3_7:                                ; =>This Loop Header: Depth=1
                                        ;     Child Loop BB3_10 Depth 2
	v_dual_mov_b32 v19, v6 :: v_dual_add_nc_u32 v2, v19, v0
	v_mov_b32_e32 v20, s5
	s_mov_b32 s12, exec_lo
	ds_store_b8 v5, v9 offset:16
	s_waitcnt lgkmcnt(0)
	buffer_gl0_inv
	v_cmpx_lt_i32_e64 v2, v6
	s_cbranch_execz .LBB3_15
; %bb.8:                                ;   in Loop: Header=BB3_7 Depth=1
	v_dual_mov_b32 v20, s5 :: v_dual_mov_b32 v19, v6
	s_mov_b32 s13, 0
	s_branch .LBB3_10
.LBB3_9:                                ;   in Loop: Header=BB3_10 Depth=2
	s_or_b32 exec_lo, exec_lo, s3
	v_add_nc_u32_e32 v2, 8, v2
	s_xor_b32 s2, s2, -1
	s_delay_alu instid0(VALU_DEP_1) | instskip(NEXT) | instid1(VALU_DEP_1)
	v_cmp_ge_i32_e64 s3, v2, v6
	s_or_b32 s2, s2, s3
	s_delay_alu instid0(SALU_CYCLE_1) | instskip(NEXT) | instid1(SALU_CYCLE_1)
	s_and_b32 s2, exec_lo, s2
	s_or_b32 s13, s2, s13
	s_delay_alu instid0(SALU_CYCLE_1)
	s_and_not1_b32 exec_lo, exec_lo, s13
	s_cbranch_execz .LBB3_14
.LBB3_10:                               ;   Parent Loop BB3_7 Depth=1
                                        ; =>  This Inner Loop Header: Depth=2
	v_ashrrev_i32_e32 v3, 31, v2
	s_delay_alu instid0(VALU_DEP_1) | instskip(NEXT) | instid1(VALU_DEP_1)
	v_lshlrev_b64 v[22:23], 2, v[2:3]
	v_add_co_u32 v22, s2, s8, v22
	s_delay_alu instid0(VALU_DEP_1) | instskip(SKIP_3) | instid1(VALU_DEP_1)
	v_add_co_ci_u32_e64 v23, s2, s9, v23, s2
	global_load_b32 v3, v[22:23], off
	s_waitcnt vmcnt(0)
	v_subrev_nc_u32_e32 v3, s7, v3
	v_sub_nc_u32_e32 v22, 0, v3
	s_delay_alu instid0(VALU_DEP_1) | instskip(SKIP_1) | instid1(VALU_DEP_2)
	v_max_i32_e32 v22, v3, v22
	v_ashrrev_i32_e32 v3, 31, v3
	v_mul_hi_u32 v23, v22, v18
	s_delay_alu instid0(VALU_DEP_2) | instskip(NEXT) | instid1(VALU_DEP_2)
	v_xor_b32_e32 v3, s6, v3
	v_mul_lo_u32 v24, v23, s10
	s_delay_alu instid0(VALU_DEP_1) | instskip(SKIP_1) | instid1(VALU_DEP_2)
	v_sub_nc_u32_e32 v22, v22, v24
	v_add_nc_u32_e32 v24, 1, v23
	v_subrev_nc_u32_e32 v25, s10, v22
	v_cmp_le_u32_e64 s2, s10, v22
	s_delay_alu instid0(VALU_DEP_1) | instskip(NEXT) | instid1(VALU_DEP_3)
	v_cndmask_b32_e64 v23, v23, v24, s2
	v_cndmask_b32_e64 v22, v22, v25, s2
	s_delay_alu instid0(VALU_DEP_2) | instskip(NEXT) | instid1(VALU_DEP_2)
	v_add_nc_u32_e32 v24, 1, v23
	v_cmp_le_u32_e64 s2, s10, v22
	s_delay_alu instid0(VALU_DEP_1) | instskip(NEXT) | instid1(VALU_DEP_1)
	v_cndmask_b32_e64 v22, v23, v24, s2
	v_xor_b32_e32 v22, v22, v3
	s_delay_alu instid0(VALU_DEP_1) | instskip(SKIP_1) | instid1(VALU_DEP_2)
	v_sub_nc_u32_e32 v22, v22, v3
	v_mov_b32_e32 v3, v19
	v_cmp_eq_u32_e64 s2, v22, v21
	v_cmp_ne_u32_e64 s3, v22, v21
	s_delay_alu instid0(VALU_DEP_1) | instskip(NEXT) | instid1(SALU_CYCLE_1)
	s_and_saveexec_b32 s14, s3
	s_xor_b32 s3, exec_lo, s14
; %bb.11:                               ;   in Loop: Header=BB3_10 Depth=2
	v_min_i32_e32 v20, v22, v20
                                        ; implicit-def: $vgpr3
; %bb.12:                               ;   in Loop: Header=BB3_10 Depth=2
	s_or_saveexec_b32 s3, s3
	v_mov_b32_e32 v19, v2
	s_xor_b32 exec_lo, exec_lo, s3
	s_cbranch_execz .LBB3_9
; %bb.13:                               ;   in Loop: Header=BB3_10 Depth=2
	v_mov_b32_e32 v19, v3
	ds_store_b8 v5, v10 offset:16
	s_branch .LBB3_9
.LBB3_14:                               ;   in Loop: Header=BB3_7 Depth=1
	s_or_b32 exec_lo, exec_lo, s13
.LBB3_15:                               ;   in Loop: Header=BB3_7 Depth=1
	s_delay_alu instid0(SALU_CYCLE_1)
	s_or_b32 exec_lo, exec_lo, s12
	ds_bpermute_b32 v2, v12, v19
	s_waitcnt lgkmcnt(0)
	buffer_gl0_inv
	ds_load_u8 v21, v5 offset:16
	v_min_i32_e32 v2, v2, v19
	ds_bpermute_b32 v3, v13, v2
	s_waitcnt lgkmcnt(0)
	v_min_i32_e32 v2, v3, v2
	ds_bpermute_b32 v3, v14, v2
	s_waitcnt lgkmcnt(0)
	v_min_i32_e32 v2, v3, v2
	ds_bpermute_b32 v19, v11, v2
	v_and_b32_e32 v2, 1, v21
	s_delay_alu instid0(VALU_DEP_1) | instskip(NEXT) | instid1(VALU_DEP_1)
	v_cmp_eq_u32_e64 s2, 1, v2
	s_and_b32 s3, vcc_lo, s2
	s_delay_alu instid0(SALU_CYCLE_1)
	s_and_saveexec_b32 s2, s3
	s_cbranch_execz .LBB3_6
; %bb.16:                               ;   in Loop: Header=BB3_7 Depth=1
	ds_load_b32 v2, v4
	s_waitcnt lgkmcnt(0)
	v_add_nc_u32_e32 v2, 1, v2
	ds_store_b32 v4, v2
	s_branch .LBB3_6
.LBB3_17:
	s_or_b32 exec_lo, exec_lo, s11
.LBB3_18:
	s_delay_alu instid0(SALU_CYCLE_1)
	s_mov_b32 s2, exec_lo
	v_cmpx_eq_u32_e32 0, v7
	s_cbranch_execz .LBB3_21
; %bb.19:
	s_clause 0x1
	s_load_b32 s2, s[0:1], 0x28
	s_load_b64 s[0:1], s[0:1], 0x30
	v_mov_b32_e32 v2, 0
	v_cmp_gt_u32_e32 vcc_lo, s4, v1
	s_waitcnt lgkmcnt(0)
	v_mov_b32_e32 v0, s2
	global_store_b32 v2, v0, s[0:1]
	s_and_b32 exec_lo, exec_lo, vcc_lo
	s_cbranch_execz .LBB3_21
; %bb.20:
	ds_load_b32 v3, v4
	v_lshlrev_b64 v[0:1], 2, v[1:2]
	s_delay_alu instid0(VALU_DEP_1) | instskip(NEXT) | instid1(VALU_DEP_2)
	v_add_co_u32 v0, vcc_lo, s0, v0
	v_add_co_ci_u32_e32 v1, vcc_lo, s1, v1, vcc_lo
	s_waitcnt lgkmcnt(0)
	global_store_b32 v[0:1], v3, off offset:4
.LBB3_21:
	s_nop 0
	s_sendmsg sendmsg(MSG_DEALLOC_VGPRS)
	s_endpgm
	.section	.rodata,"a",@progbits
	.p2align	6, 0x0
	.amdhsa_kernel _ZN9rocsparseL46csr2bsr_nnz_wavefront_per_row_multipass_kernelILj256ELj64ELj8EiiEEvT3_S1_S1_S1_S1_21rocsparse_index_base_PKT2_PKS1_S2_PS3_
		.amdhsa_group_segment_fixed_size 20
		.amdhsa_private_segment_fixed_size 0
		.amdhsa_kernarg_size 56
		.amdhsa_user_sgpr_count 15
		.amdhsa_user_sgpr_dispatch_ptr 0
		.amdhsa_user_sgpr_queue_ptr 0
		.amdhsa_user_sgpr_kernarg_segment_ptr 1
		.amdhsa_user_sgpr_dispatch_id 0
		.amdhsa_user_sgpr_private_segment_size 0
		.amdhsa_wavefront_size32 1
		.amdhsa_uses_dynamic_stack 0
		.amdhsa_enable_private_segment 0
		.amdhsa_system_sgpr_workgroup_id_x 1
		.amdhsa_system_sgpr_workgroup_id_y 0
		.amdhsa_system_sgpr_workgroup_id_z 0
		.amdhsa_system_sgpr_workgroup_info 0
		.amdhsa_system_vgpr_workitem_id 0
		.amdhsa_next_free_vgpr 26
		.amdhsa_next_free_sgpr 16
		.amdhsa_reserve_vcc 1
		.amdhsa_float_round_mode_32 0
		.amdhsa_float_round_mode_16_64 0
		.amdhsa_float_denorm_mode_32 3
		.amdhsa_float_denorm_mode_16_64 3
		.amdhsa_dx10_clamp 1
		.amdhsa_ieee_mode 1
		.amdhsa_fp16_overflow 0
		.amdhsa_workgroup_processor_mode 1
		.amdhsa_memory_ordered 1
		.amdhsa_forward_progress 0
		.amdhsa_shared_vgpr_count 0
		.amdhsa_exception_fp_ieee_invalid_op 0
		.amdhsa_exception_fp_denorm_src 0
		.amdhsa_exception_fp_ieee_div_zero 0
		.amdhsa_exception_fp_ieee_overflow 0
		.amdhsa_exception_fp_ieee_underflow 0
		.amdhsa_exception_fp_ieee_inexact 0
		.amdhsa_exception_int_div_zero 0
	.end_amdhsa_kernel
	.section	.text._ZN9rocsparseL46csr2bsr_nnz_wavefront_per_row_multipass_kernelILj256ELj64ELj8EiiEEvT3_S1_S1_S1_S1_21rocsparse_index_base_PKT2_PKS1_S2_PS3_,"axG",@progbits,_ZN9rocsparseL46csr2bsr_nnz_wavefront_per_row_multipass_kernelILj256ELj64ELj8EiiEEvT3_S1_S1_S1_S1_21rocsparse_index_base_PKT2_PKS1_S2_PS3_,comdat
.Lfunc_end3:
	.size	_ZN9rocsparseL46csr2bsr_nnz_wavefront_per_row_multipass_kernelILj256ELj64ELj8EiiEEvT3_S1_S1_S1_S1_21rocsparse_index_base_PKT2_PKS1_S2_PS3_, .Lfunc_end3-_ZN9rocsparseL46csr2bsr_nnz_wavefront_per_row_multipass_kernelILj256ELj64ELj8EiiEEvT3_S1_S1_S1_S1_21rocsparse_index_base_PKT2_PKS1_S2_PS3_
                                        ; -- End function
	.section	.AMDGPU.csdata,"",@progbits
; Kernel info:
; codeLenInByte = 1316
; NumSgprs: 18
; NumVgprs: 26
; ScratchSize: 0
; MemoryBound: 0
; FloatMode: 240
; IeeeMode: 1
; LDSByteSize: 20 bytes/workgroup (compile time only)
; SGPRBlocks: 2
; VGPRBlocks: 3
; NumSGPRsForWavesPerEU: 18
; NumVGPRsForWavesPerEU: 26
; Occupancy: 16
; WaveLimiterHint : 0
; COMPUTE_PGM_RSRC2:SCRATCH_EN: 0
; COMPUTE_PGM_RSRC2:USER_SGPR: 15
; COMPUTE_PGM_RSRC2:TRAP_HANDLER: 0
; COMPUTE_PGM_RSRC2:TGID_X_EN: 1
; COMPUTE_PGM_RSRC2:TGID_Y_EN: 0
; COMPUTE_PGM_RSRC2:TGID_Z_EN: 0
; COMPUTE_PGM_RSRC2:TIDIG_COMP_CNT: 0
	.section	.text._ZN9rocsparseL46csr2bsr_nnz_wavefront_per_row_multipass_kernelILj256ELj32ELj8EiiEEvT3_S1_S1_S1_S1_21rocsparse_index_base_PKT2_PKS1_S2_PS3_,"axG",@progbits,_ZN9rocsparseL46csr2bsr_nnz_wavefront_per_row_multipass_kernelILj256ELj32ELj8EiiEEvT3_S1_S1_S1_S1_21rocsparse_index_base_PKT2_PKS1_S2_PS3_,comdat
	.globl	_ZN9rocsparseL46csr2bsr_nnz_wavefront_per_row_multipass_kernelILj256ELj32ELj8EiiEEvT3_S1_S1_S1_S1_21rocsparse_index_base_PKT2_PKS1_S2_PS3_ ; -- Begin function _ZN9rocsparseL46csr2bsr_nnz_wavefront_per_row_multipass_kernelILj256ELj32ELj8EiiEEvT3_S1_S1_S1_S1_21rocsparse_index_base_PKT2_PKS1_S2_PS3_
	.p2align	8
	.type	_ZN9rocsparseL46csr2bsr_nnz_wavefront_per_row_multipass_kernelILj256ELj32ELj8EiiEEvT3_S1_S1_S1_S1_21rocsparse_index_base_PKT2_PKS1_S2_PS3_,@function
_ZN9rocsparseL46csr2bsr_nnz_wavefront_per_row_multipass_kernelILj256ELj32ELj8EiiEEvT3_S1_S1_S1_S1_21rocsparse_index_base_PKT2_PKS1_S2_PS3_: ; @_ZN9rocsparseL46csr2bsr_nnz_wavefront_per_row_multipass_kernelILj256ELj32ELj8EiiEEvT3_S1_S1_S1_S1_21rocsparse_index_base_PKT2_PKS1_S2_PS3_
; %bb.0:
	s_clause 0x1
	s_load_b128 s[4:7], s[0:1], 0x8
	s_load_b32 s2, s[0:1], 0x0
	v_lshrrev_b32_e32 v5, 5, v0
	v_bfe_u32 v7, v0, 2, 3
	s_load_b64 s[8:9], s[0:1], 0x18
	v_mov_b32_e32 v6, 0
	v_mov_b32_e32 v18, 0
	v_lshl_or_b32 v1, s15, 3, v5
	v_lshlrev_b32_e32 v4, 2, v5
	ds_store_b32 v4, v6
	s_waitcnt lgkmcnt(0)
	s_barrier
	buffer_gl0_inv
	v_mad_u64_u32 v[2:3], null, v1, s6, v[7:8]
	s_delay_alu instid0(VALU_DEP_1) | instskip(SKIP_1) | instid1(VALU_DEP_1)
	v_cmp_gt_i32_e32 vcc_lo, s2, v2
	v_cmp_gt_i32_e64 s2, s6, v7
	s_and_b32 s2, s2, vcc_lo
	s_delay_alu instid0(SALU_CYCLE_1)
	s_and_saveexec_b32 s3, s2
	s_cbranch_execz .LBB4_2
; %bb.1:
	v_ashrrev_i32_e32 v3, 31, v2
	s_delay_alu instid0(VALU_DEP_1) | instskip(NEXT) | instid1(VALU_DEP_1)
	v_lshlrev_b64 v[7:8], 2, v[2:3]
	v_add_co_u32 v7, vcc_lo, s8, v7
	s_delay_alu instid0(VALU_DEP_2)
	v_add_co_ci_u32_e32 v8, vcc_lo, s9, v8, vcc_lo
	global_load_b32 v3, v[7:8], off
	s_waitcnt vmcnt(0)
	v_subrev_nc_u32_e32 v18, s7, v3
.LBB4_2:
	s_or_b32 exec_lo, exec_lo, s3
	s_and_saveexec_b32 s3, s2
	s_cbranch_execz .LBB4_4
; %bb.3:
	v_ashrrev_i32_e32 v3, 31, v2
	s_delay_alu instid0(VALU_DEP_1) | instskip(NEXT) | instid1(VALU_DEP_1)
	v_lshlrev_b64 v[2:3], 2, v[2:3]
	v_add_co_u32 v2, vcc_lo, s8, v2
	s_delay_alu instid0(VALU_DEP_2)
	v_add_co_ci_u32_e32 v3, vcc_lo, s9, v3, vcc_lo
	global_load_b32 v2, v[2:3], off offset:4
	s_waitcnt vmcnt(0)
	v_subrev_nc_u32_e32 v6, s7, v2
.LBB4_4:
	s_or_b32 exec_lo, exec_lo, s3
	v_and_b32_e32 v7, 31, v0
	s_cmp_lt_i32 s5, 1
	s_delay_alu instid0(VALU_DEP_1)
	v_cmp_eq_u32_e32 vcc_lo, 0, v7
	s_cbranch_scc1 .LBB4_18
; %bb.5:
	s_abs_i32 s10, s6
	v_mbcnt_lo_u32_b32 v3, -1, 0
	v_cvt_f32_u32_e32 v2, s10
	s_sub_i32 s2, 0, s10
	s_load_b64 s[8:9], s[0:1], 0x20
	v_dual_mov_b32 v9, 0 :: v_dual_and_b32 v0, 3, v0
	s_delay_alu instid0(VALU_DEP_2)
	v_rcp_iflag_f32_e32 v2, v2
	v_xor_b32_e32 v12, 2, v3
	v_xor_b32_e32 v13, 1, v3
	;; [unrolled: 1-line block ×5, first 2 shown]
	v_lshl_or_b32 v11, v3, 2, 12
	v_mov_b32_e32 v20, 0
	s_mov_b32 s11, 0
	s_ashr_i32 s6, s6, 31
	v_mul_f32_e32 v2, 0x4f7ffffe, v2
	s_delay_alu instid0(VALU_DEP_1) | instskip(NEXT) | instid1(VALU_DEP_1)
	v_cvt_u32_f32_e32 v2, v2
	v_mul_lo_u32 v17, s2, v2
	v_cmp_gt_i32_e64 s2, 32, v12
	s_delay_alu instid0(VALU_DEP_1) | instskip(SKIP_1) | instid1(VALU_DEP_4)
	v_cndmask_b32_e64 v12, v3, v12, s2
	v_cmp_gt_i32_e64 s2, 32, v13
	v_mul_hi_u32 v17, v2, v17
	v_mov_b32_e32 v10, 1
	s_delay_alu instid0(VALU_DEP_4) | instskip(NEXT) | instid1(VALU_DEP_4)
	v_lshlrev_b32_e32 v12, 2, v12
	v_cndmask_b32_e64 v13, v3, v13, s2
	v_cmp_gt_i32_e64 s2, 32, v14
	v_dual_mov_b32 v8, 0x7c :: v_dual_add_nc_u32 v17, v2, v17
	s_delay_alu instid0(VALU_DEP_3) | instskip(NEXT) | instid1(VALU_DEP_3)
	v_lshlrev_b32_e32 v13, 2, v13
	v_cndmask_b32_e64 v14, v3, v14, s2
	v_cmp_gt_i32_e64 s2, 32, v15
	s_delay_alu instid0(VALU_DEP_2) | instskip(NEXT) | instid1(VALU_DEP_2)
	v_lshlrev_b32_e32 v14, 2, v14
	v_cndmask_b32_e64 v15, v3, v15, s2
	v_cmp_gt_i32_e64 s2, 32, v16
	s_delay_alu instid0(VALU_DEP_2) | instskip(NEXT) | instid1(VALU_DEP_2)
	v_lshlrev_b32_e32 v15, 2, v15
	v_cndmask_b32_e64 v3, v3, v16, s2
	s_delay_alu instid0(VALU_DEP_1)
	v_lshlrev_b32_e32 v16, 2, v3
	s_branch .LBB4_7
.LBB4_6:                                ;   in Loop: Header=BB4_7 Depth=1
	s_or_b32 exec_lo, exec_lo, s2
	ds_bpermute_b32 v2, v14, v19
	s_waitcnt lgkmcnt(0)
	buffer_gl0_inv
	v_min_i32_e32 v2, v2, v19
	ds_bpermute_b32 v3, v15, v2
	s_waitcnt lgkmcnt(0)
	v_min_i32_e32 v2, v3, v2
	ds_bpermute_b32 v3, v16, v2
	s_waitcnt lgkmcnt(0)
	;; [unrolled: 3-line block ×5, first 2 shown]
	v_cmp_le_i32_e64 s2, s5, v20
	s_delay_alu instid0(VALU_DEP_1) | instskip(NEXT) | instid1(SALU_CYCLE_1)
	s_or_b32 s11, s2, s11
	s_and_not1_b32 exec_lo, exec_lo, s11
	s_cbranch_execz .LBB4_17
.LBB4_7:                                ; =>This Loop Header: Depth=1
                                        ;     Child Loop BB4_10 Depth 2
	v_dual_mov_b32 v19, s5 :: v_dual_add_nc_u32 v2, v18, v0
	v_mov_b32_e32 v18, v6
	s_mov_b32 s12, exec_lo
	ds_store_b8 v5, v9 offset:32
	s_waitcnt lgkmcnt(0)
	buffer_gl0_inv
	v_cmpx_lt_i32_e64 v2, v6
	s_cbranch_execz .LBB4_15
; %bb.8:                                ;   in Loop: Header=BB4_7 Depth=1
	v_dual_mov_b32 v19, s5 :: v_dual_mov_b32 v18, v6
	s_mov_b32 s13, 0
	s_branch .LBB4_10
.LBB4_9:                                ;   in Loop: Header=BB4_10 Depth=2
	s_or_b32 exec_lo, exec_lo, s3
	v_add_nc_u32_e32 v2, 4, v2
	s_xor_b32 s2, s2, -1
	s_delay_alu instid0(VALU_DEP_1) | instskip(NEXT) | instid1(VALU_DEP_1)
	v_cmp_ge_i32_e64 s3, v2, v6
	s_or_b32 s2, s2, s3
	s_delay_alu instid0(SALU_CYCLE_1) | instskip(NEXT) | instid1(SALU_CYCLE_1)
	s_and_b32 s2, exec_lo, s2
	s_or_b32 s13, s2, s13
	s_delay_alu instid0(SALU_CYCLE_1)
	s_and_not1_b32 exec_lo, exec_lo, s13
	s_cbranch_execz .LBB4_14
.LBB4_10:                               ;   Parent Loop BB4_7 Depth=1
                                        ; =>  This Inner Loop Header: Depth=2
	v_ashrrev_i32_e32 v3, 31, v2
	s_delay_alu instid0(VALU_DEP_1) | instskip(NEXT) | instid1(VALU_DEP_1)
	v_lshlrev_b64 v[21:22], 2, v[2:3]
	v_add_co_u32 v21, s2, s8, v21
	s_delay_alu instid0(VALU_DEP_1) | instskip(SKIP_3) | instid1(VALU_DEP_1)
	v_add_co_ci_u32_e64 v22, s2, s9, v22, s2
	global_load_b32 v3, v[21:22], off
	s_waitcnt vmcnt(0)
	v_subrev_nc_u32_e32 v3, s7, v3
	v_sub_nc_u32_e32 v21, 0, v3
	s_delay_alu instid0(VALU_DEP_1) | instskip(SKIP_1) | instid1(VALU_DEP_2)
	v_max_i32_e32 v21, v3, v21
	v_ashrrev_i32_e32 v3, 31, v3
	v_mul_hi_u32 v22, v21, v17
	s_delay_alu instid0(VALU_DEP_2) | instskip(NEXT) | instid1(VALU_DEP_2)
	v_xor_b32_e32 v3, s6, v3
	v_mul_lo_u32 v23, v22, s10
	s_delay_alu instid0(VALU_DEP_1) | instskip(SKIP_1) | instid1(VALU_DEP_2)
	v_sub_nc_u32_e32 v21, v21, v23
	v_add_nc_u32_e32 v23, 1, v22
	v_subrev_nc_u32_e32 v24, s10, v21
	v_cmp_le_u32_e64 s2, s10, v21
	s_delay_alu instid0(VALU_DEP_1) | instskip(NEXT) | instid1(VALU_DEP_3)
	v_cndmask_b32_e64 v22, v22, v23, s2
	v_cndmask_b32_e64 v21, v21, v24, s2
	s_delay_alu instid0(VALU_DEP_2) | instskip(NEXT) | instid1(VALU_DEP_2)
	v_add_nc_u32_e32 v23, 1, v22
	v_cmp_le_u32_e64 s2, s10, v21
	s_delay_alu instid0(VALU_DEP_1) | instskip(NEXT) | instid1(VALU_DEP_1)
	v_cndmask_b32_e64 v21, v22, v23, s2
	v_xor_b32_e32 v21, v21, v3
	s_delay_alu instid0(VALU_DEP_1) | instskip(SKIP_1) | instid1(VALU_DEP_2)
	v_sub_nc_u32_e32 v21, v21, v3
	v_mov_b32_e32 v3, v18
	v_cmp_eq_u32_e64 s2, v21, v20
	v_cmp_ne_u32_e64 s3, v21, v20
	s_delay_alu instid0(VALU_DEP_1) | instskip(NEXT) | instid1(SALU_CYCLE_1)
	s_and_saveexec_b32 s14, s3
	s_xor_b32 s3, exec_lo, s14
; %bb.11:                               ;   in Loop: Header=BB4_10 Depth=2
	v_min_i32_e32 v19, v21, v19
                                        ; implicit-def: $vgpr3
; %bb.12:                               ;   in Loop: Header=BB4_10 Depth=2
	s_or_saveexec_b32 s3, s3
	v_mov_b32_e32 v18, v2
	s_xor_b32 exec_lo, exec_lo, s3
	s_cbranch_execz .LBB4_9
; %bb.13:                               ;   in Loop: Header=BB4_10 Depth=2
	v_mov_b32_e32 v18, v3
	ds_store_b8 v5, v10 offset:32
	s_branch .LBB4_9
.LBB4_14:                               ;   in Loop: Header=BB4_7 Depth=1
	s_or_b32 exec_lo, exec_lo, s13
.LBB4_15:                               ;   in Loop: Header=BB4_7 Depth=1
	s_delay_alu instid0(SALU_CYCLE_1)
	s_or_b32 exec_lo, exec_lo, s12
	ds_bpermute_b32 v2, v12, v18
	s_waitcnt lgkmcnt(0)
	buffer_gl0_inv
	ds_load_u8 v20, v5 offset:32
	v_min_i32_e32 v2, v2, v18
	ds_bpermute_b32 v3, v13, v2
	s_waitcnt lgkmcnt(0)
	v_min_i32_e32 v2, v3, v2
	ds_bpermute_b32 v18, v11, v2
	v_and_b32_e32 v2, 1, v20
	s_delay_alu instid0(VALU_DEP_1) | instskip(NEXT) | instid1(VALU_DEP_1)
	v_cmp_eq_u32_e64 s2, 1, v2
	s_and_b32 s3, vcc_lo, s2
	s_delay_alu instid0(SALU_CYCLE_1)
	s_and_saveexec_b32 s2, s3
	s_cbranch_execz .LBB4_6
; %bb.16:                               ;   in Loop: Header=BB4_7 Depth=1
	ds_load_b32 v2, v4
	s_waitcnt lgkmcnt(0)
	v_add_nc_u32_e32 v2, 1, v2
	ds_store_b32 v4, v2
	s_branch .LBB4_6
.LBB4_17:
	s_or_b32 exec_lo, exec_lo, s11
.LBB4_18:
	s_delay_alu instid0(SALU_CYCLE_1)
	s_mov_b32 s2, exec_lo
	v_cmpx_eq_u32_e32 0, v7
	s_cbranch_execz .LBB4_21
; %bb.19:
	s_clause 0x1
	s_load_b32 s2, s[0:1], 0x28
	s_load_b64 s[0:1], s[0:1], 0x30
	v_mov_b32_e32 v2, 0
	v_cmp_gt_u32_e32 vcc_lo, s4, v1
	s_waitcnt lgkmcnt(0)
	v_mov_b32_e32 v0, s2
	global_store_b32 v2, v0, s[0:1]
	s_and_b32 exec_lo, exec_lo, vcc_lo
	s_cbranch_execz .LBB4_21
; %bb.20:
	ds_load_b32 v3, v4
	v_lshlrev_b64 v[0:1], 2, v[1:2]
	s_delay_alu instid0(VALU_DEP_1) | instskip(NEXT) | instid1(VALU_DEP_2)
	v_add_co_u32 v0, vcc_lo, s0, v0
	v_add_co_ci_u32_e32 v1, vcc_lo, s1, v1, vcc_lo
	s_waitcnt lgkmcnt(0)
	global_store_b32 v[0:1], v3, off offset:4
.LBB4_21:
	s_nop 0
	s_sendmsg sendmsg(MSG_DEALLOC_VGPRS)
	s_endpgm
	.section	.rodata,"a",@progbits
	.p2align	6, 0x0
	.amdhsa_kernel _ZN9rocsparseL46csr2bsr_nnz_wavefront_per_row_multipass_kernelILj256ELj32ELj8EiiEEvT3_S1_S1_S1_S1_21rocsparse_index_base_PKT2_PKS1_S2_PS3_
		.amdhsa_group_segment_fixed_size 40
		.amdhsa_private_segment_fixed_size 0
		.amdhsa_kernarg_size 56
		.amdhsa_user_sgpr_count 15
		.amdhsa_user_sgpr_dispatch_ptr 0
		.amdhsa_user_sgpr_queue_ptr 0
		.amdhsa_user_sgpr_kernarg_segment_ptr 1
		.amdhsa_user_sgpr_dispatch_id 0
		.amdhsa_user_sgpr_private_segment_size 0
		.amdhsa_wavefront_size32 1
		.amdhsa_uses_dynamic_stack 0
		.amdhsa_enable_private_segment 0
		.amdhsa_system_sgpr_workgroup_id_x 1
		.amdhsa_system_sgpr_workgroup_id_y 0
		.amdhsa_system_sgpr_workgroup_id_z 0
		.amdhsa_system_sgpr_workgroup_info 0
		.amdhsa_system_vgpr_workitem_id 0
		.amdhsa_next_free_vgpr 25
		.amdhsa_next_free_sgpr 16
		.amdhsa_reserve_vcc 1
		.amdhsa_float_round_mode_32 0
		.amdhsa_float_round_mode_16_64 0
		.amdhsa_float_denorm_mode_32 3
		.amdhsa_float_denorm_mode_16_64 3
		.amdhsa_dx10_clamp 1
		.amdhsa_ieee_mode 1
		.amdhsa_fp16_overflow 0
		.amdhsa_workgroup_processor_mode 1
		.amdhsa_memory_ordered 1
		.amdhsa_forward_progress 0
		.amdhsa_shared_vgpr_count 0
		.amdhsa_exception_fp_ieee_invalid_op 0
		.amdhsa_exception_fp_denorm_src 0
		.amdhsa_exception_fp_ieee_div_zero 0
		.amdhsa_exception_fp_ieee_overflow 0
		.amdhsa_exception_fp_ieee_underflow 0
		.amdhsa_exception_fp_ieee_inexact 0
		.amdhsa_exception_int_div_zero 0
	.end_amdhsa_kernel
	.section	.text._ZN9rocsparseL46csr2bsr_nnz_wavefront_per_row_multipass_kernelILj256ELj32ELj8EiiEEvT3_S1_S1_S1_S1_21rocsparse_index_base_PKT2_PKS1_S2_PS3_,"axG",@progbits,_ZN9rocsparseL46csr2bsr_nnz_wavefront_per_row_multipass_kernelILj256ELj32ELj8EiiEEvT3_S1_S1_S1_S1_21rocsparse_index_base_PKT2_PKS1_S2_PS3_,comdat
.Lfunc_end4:
	.size	_ZN9rocsparseL46csr2bsr_nnz_wavefront_per_row_multipass_kernelILj256ELj32ELj8EiiEEvT3_S1_S1_S1_S1_21rocsparse_index_base_PKT2_PKS1_S2_PS3_, .Lfunc_end4-_ZN9rocsparseL46csr2bsr_nnz_wavefront_per_row_multipass_kernelILj256ELj32ELj8EiiEEvT3_S1_S1_S1_S1_21rocsparse_index_base_PKT2_PKS1_S2_PS3_
                                        ; -- End function
	.section	.AMDGPU.csdata,"",@progbits
; Kernel info:
; codeLenInByte = 1260
; NumSgprs: 18
; NumVgprs: 25
; ScratchSize: 0
; MemoryBound: 0
; FloatMode: 240
; IeeeMode: 1
; LDSByteSize: 40 bytes/workgroup (compile time only)
; SGPRBlocks: 2
; VGPRBlocks: 3
; NumSGPRsForWavesPerEU: 18
; NumVGPRsForWavesPerEU: 25
; Occupancy: 16
; WaveLimiterHint : 0
; COMPUTE_PGM_RSRC2:SCRATCH_EN: 0
; COMPUTE_PGM_RSRC2:USER_SGPR: 15
; COMPUTE_PGM_RSRC2:TRAP_HANDLER: 0
; COMPUTE_PGM_RSRC2:TGID_X_EN: 1
; COMPUTE_PGM_RSRC2:TGID_Y_EN: 0
; COMPUTE_PGM_RSRC2:TGID_Z_EN: 0
; COMPUTE_PGM_RSRC2:TIDIG_COMP_CNT: 0
	.section	.text._ZN9rocsparseL46csr2bsr_nnz_wavefront_per_row_multipass_kernelILj256ELj64ELj16EiiEEvT3_S1_S1_S1_S1_21rocsparse_index_base_PKT2_PKS1_S2_PS3_,"axG",@progbits,_ZN9rocsparseL46csr2bsr_nnz_wavefront_per_row_multipass_kernelILj256ELj64ELj16EiiEEvT3_S1_S1_S1_S1_21rocsparse_index_base_PKT2_PKS1_S2_PS3_,comdat
	.globl	_ZN9rocsparseL46csr2bsr_nnz_wavefront_per_row_multipass_kernelILj256ELj64ELj16EiiEEvT3_S1_S1_S1_S1_21rocsparse_index_base_PKT2_PKS1_S2_PS3_ ; -- Begin function _ZN9rocsparseL46csr2bsr_nnz_wavefront_per_row_multipass_kernelILj256ELj64ELj16EiiEEvT3_S1_S1_S1_S1_21rocsparse_index_base_PKT2_PKS1_S2_PS3_
	.p2align	8
	.type	_ZN9rocsparseL46csr2bsr_nnz_wavefront_per_row_multipass_kernelILj256ELj64ELj16EiiEEvT3_S1_S1_S1_S1_21rocsparse_index_base_PKT2_PKS1_S2_PS3_,@function
_ZN9rocsparseL46csr2bsr_nnz_wavefront_per_row_multipass_kernelILj256ELj64ELj16EiiEEvT3_S1_S1_S1_S1_21rocsparse_index_base_PKT2_PKS1_S2_PS3_: ; @_ZN9rocsparseL46csr2bsr_nnz_wavefront_per_row_multipass_kernelILj256ELj64ELj16EiiEEvT3_S1_S1_S1_S1_21rocsparse_index_base_PKT2_PKS1_S2_PS3_
; %bb.0:
	s_clause 0x1
	s_load_b128 s[4:7], s[0:1], 0x8
	s_load_b32 s2, s[0:1], 0x0
	v_lshrrev_b32_e32 v5, 6, v0
	v_bfe_u32 v7, v0, 2, 4
	s_load_b64 s[8:9], s[0:1], 0x18
	v_dual_mov_b32 v6, 0 :: v_dual_mov_b32 v19, 0
	s_delay_alu instid0(VALU_DEP_3)
	v_lshl_or_b32 v1, s15, 2, v5
	v_lshlrev_b32_e32 v4, 2, v5
	ds_store_b32 v4, v6
	s_waitcnt lgkmcnt(0)
	s_barrier
	buffer_gl0_inv
	v_mad_u64_u32 v[2:3], null, v1, s6, v[7:8]
	s_delay_alu instid0(VALU_DEP_1) | instskip(SKIP_1) | instid1(VALU_DEP_1)
	v_cmp_gt_i32_e32 vcc_lo, s2, v2
	v_cmp_gt_i32_e64 s2, s6, v7
	s_and_b32 s2, s2, vcc_lo
	s_delay_alu instid0(SALU_CYCLE_1)
	s_and_saveexec_b32 s3, s2
	s_cbranch_execz .LBB5_2
; %bb.1:
	v_ashrrev_i32_e32 v3, 31, v2
	s_delay_alu instid0(VALU_DEP_1) | instskip(NEXT) | instid1(VALU_DEP_1)
	v_lshlrev_b64 v[7:8], 2, v[2:3]
	v_add_co_u32 v7, vcc_lo, s8, v7
	s_delay_alu instid0(VALU_DEP_2)
	v_add_co_ci_u32_e32 v8, vcc_lo, s9, v8, vcc_lo
	global_load_b32 v3, v[7:8], off
	s_waitcnt vmcnt(0)
	v_subrev_nc_u32_e32 v19, s7, v3
.LBB5_2:
	s_or_b32 exec_lo, exec_lo, s3
	s_and_saveexec_b32 s3, s2
	s_cbranch_execz .LBB5_4
; %bb.3:
	v_ashrrev_i32_e32 v3, 31, v2
	s_delay_alu instid0(VALU_DEP_1) | instskip(NEXT) | instid1(VALU_DEP_1)
	v_lshlrev_b64 v[2:3], 2, v[2:3]
	v_add_co_u32 v2, vcc_lo, s8, v2
	s_delay_alu instid0(VALU_DEP_2)
	v_add_co_ci_u32_e32 v3, vcc_lo, s9, v3, vcc_lo
	global_load_b32 v2, v[2:3], off offset:4
	s_waitcnt vmcnt(0)
	v_subrev_nc_u32_e32 v6, s7, v2
.LBB5_4:
	s_or_b32 exec_lo, exec_lo, s3
	v_and_b32_e32 v7, 63, v0
	s_cmp_lt_i32 s5, 1
	s_delay_alu instid0(VALU_DEP_1)
	v_cmp_eq_u32_e32 vcc_lo, 0, v7
	s_cbranch_scc1 .LBB5_18
; %bb.5:
	v_mbcnt_lo_u32_b32 v3, -1, 0
	s_abs_i32 s10, s6
	s_load_b64 s[8:9], s[0:1], 0x20
	v_cvt_f32_u32_e32 v2, s10
	s_sub_i32 s3, 0, s10
	v_xor_b32_e32 v12, 2, v3
	v_xor_b32_e32 v13, 1, v3
	v_or_b32_e32 v14, 32, v3
	v_rcp_iflag_f32_e32 v2, v2
	v_xor_b32_e32 v15, 16, v3
	v_cmp_gt_i32_e64 s2, 32, v12
	v_xor_b32_e32 v16, 8, v3
	v_xor_b32_e32 v17, 4, v3
	v_lshl_or_b32 v11, v3, 2, 12
	v_dual_mov_b32 v9, 0 :: v_dual_and_b32 v0, 3, v0
	v_cndmask_b32_e64 v12, v3, v12, s2
	v_cmp_gt_i32_e64 s2, 32, v13
	v_bfrev_b32_e32 v8, 0.5
	s_mov_b32 s11, 0
	s_delay_alu instid0(VALU_DEP_3) | instskip(NEXT) | instid1(VALU_DEP_3)
	v_dual_mov_b32 v21, 0 :: v_dual_lshlrev_b32 v12, 2, v12
	v_cndmask_b32_e64 v13, v3, v13, s2
	v_cmp_gt_i32_e64 s2, 32, v14
	v_mov_b32_e32 v10, 1
	s_ashr_i32 s6, s6, 31
	s_delay_alu instid0(VALU_DEP_3) | instskip(NEXT) | instid1(VALU_DEP_3)
	v_lshlrev_b32_e32 v13, 2, v13
	v_cndmask_b32_e64 v14, v3, v14, s2
	v_cmp_gt_i32_e64 s2, 32, v15
	s_delay_alu instid0(VALU_DEP_2) | instskip(NEXT) | instid1(VALU_DEP_2)
	v_lshlrev_b32_e32 v14, 2, v14
	v_cndmask_b32_e64 v15, v3, v15, s2
	v_mul_f32_e32 v2, 0x4f7ffffe, v2
	v_cmp_gt_i32_e64 s2, 32, v16
	s_delay_alu instid0(VALU_DEP_3) | instskip(NEXT) | instid1(VALU_DEP_3)
	v_lshlrev_b32_e32 v15, 2, v15
	v_cvt_u32_f32_e32 v2, v2
	s_delay_alu instid0(VALU_DEP_3) | instskip(SKIP_1) | instid1(VALU_DEP_3)
	v_cndmask_b32_e64 v16, v3, v16, s2
	v_cmp_gt_i32_e64 s2, 32, v17
	v_mul_lo_u32 v18, s3, v2
	s_delay_alu instid0(VALU_DEP_3) | instskip(NEXT) | instid1(VALU_DEP_3)
	v_lshlrev_b32_e32 v16, 2, v16
	v_cndmask_b32_e64 v3, v3, v17, s2
	s_delay_alu instid0(VALU_DEP_1) | instskip(NEXT) | instid1(VALU_DEP_4)
	v_lshlrev_b32_e32 v17, 2, v3
	v_mul_hi_u32 v18, v2, v18
	s_delay_alu instid0(VALU_DEP_1)
	v_add_nc_u32_e32 v18, v2, v18
	s_branch .LBB5_7
.LBB5_6:                                ;   in Loop: Header=BB5_7 Depth=1
	s_or_b32 exec_lo, exec_lo, s2
	ds_bpermute_b32 v2, v14, v20
	s_waitcnt lgkmcnt(0)
	buffer_gl0_inv
	v_min_i32_e32 v2, v2, v20
	ds_bpermute_b32 v3, v15, v2
	s_waitcnt lgkmcnt(0)
	v_min_i32_e32 v2, v3, v2
	ds_bpermute_b32 v3, v16, v2
	s_waitcnt lgkmcnt(0)
	;; [unrolled: 3-line block ×6, first 2 shown]
	v_cmp_le_i32_e64 s2, s5, v21
	s_delay_alu instid0(VALU_DEP_1) | instskip(NEXT) | instid1(SALU_CYCLE_1)
	s_or_b32 s11, s2, s11
	s_and_not1_b32 exec_lo, exec_lo, s11
	s_cbranch_execz .LBB5_17
.LBB5_7:                                ; =>This Loop Header: Depth=1
                                        ;     Child Loop BB5_10 Depth 2
	v_dual_mov_b32 v19, v6 :: v_dual_add_nc_u32 v2, v19, v0
	v_mov_b32_e32 v20, s5
	s_mov_b32 s12, exec_lo
	ds_store_b8 v5, v9 offset:16
	s_waitcnt lgkmcnt(0)
	buffer_gl0_inv
	v_cmpx_lt_i32_e64 v2, v6
	s_cbranch_execz .LBB5_15
; %bb.8:                                ;   in Loop: Header=BB5_7 Depth=1
	v_dual_mov_b32 v20, s5 :: v_dual_mov_b32 v19, v6
	s_mov_b32 s13, 0
	s_branch .LBB5_10
.LBB5_9:                                ;   in Loop: Header=BB5_10 Depth=2
	s_or_b32 exec_lo, exec_lo, s3
	v_add_nc_u32_e32 v2, 4, v2
	s_xor_b32 s2, s2, -1
	s_delay_alu instid0(VALU_DEP_1) | instskip(NEXT) | instid1(VALU_DEP_1)
	v_cmp_ge_i32_e64 s3, v2, v6
	s_or_b32 s2, s2, s3
	s_delay_alu instid0(SALU_CYCLE_1) | instskip(NEXT) | instid1(SALU_CYCLE_1)
	s_and_b32 s2, exec_lo, s2
	s_or_b32 s13, s2, s13
	s_delay_alu instid0(SALU_CYCLE_1)
	s_and_not1_b32 exec_lo, exec_lo, s13
	s_cbranch_execz .LBB5_14
.LBB5_10:                               ;   Parent Loop BB5_7 Depth=1
                                        ; =>  This Inner Loop Header: Depth=2
	v_ashrrev_i32_e32 v3, 31, v2
	s_delay_alu instid0(VALU_DEP_1) | instskip(NEXT) | instid1(VALU_DEP_1)
	v_lshlrev_b64 v[22:23], 2, v[2:3]
	v_add_co_u32 v22, s2, s8, v22
	s_delay_alu instid0(VALU_DEP_1) | instskip(SKIP_3) | instid1(VALU_DEP_1)
	v_add_co_ci_u32_e64 v23, s2, s9, v23, s2
	global_load_b32 v3, v[22:23], off
	s_waitcnt vmcnt(0)
	v_subrev_nc_u32_e32 v3, s7, v3
	v_sub_nc_u32_e32 v22, 0, v3
	s_delay_alu instid0(VALU_DEP_1) | instskip(SKIP_1) | instid1(VALU_DEP_2)
	v_max_i32_e32 v22, v3, v22
	v_ashrrev_i32_e32 v3, 31, v3
	v_mul_hi_u32 v23, v22, v18
	s_delay_alu instid0(VALU_DEP_2) | instskip(NEXT) | instid1(VALU_DEP_2)
	v_xor_b32_e32 v3, s6, v3
	v_mul_lo_u32 v24, v23, s10
	s_delay_alu instid0(VALU_DEP_1) | instskip(SKIP_1) | instid1(VALU_DEP_2)
	v_sub_nc_u32_e32 v22, v22, v24
	v_add_nc_u32_e32 v24, 1, v23
	v_subrev_nc_u32_e32 v25, s10, v22
	v_cmp_le_u32_e64 s2, s10, v22
	s_delay_alu instid0(VALU_DEP_1) | instskip(NEXT) | instid1(VALU_DEP_3)
	v_cndmask_b32_e64 v23, v23, v24, s2
	v_cndmask_b32_e64 v22, v22, v25, s2
	s_delay_alu instid0(VALU_DEP_2) | instskip(NEXT) | instid1(VALU_DEP_2)
	v_add_nc_u32_e32 v24, 1, v23
	v_cmp_le_u32_e64 s2, s10, v22
	s_delay_alu instid0(VALU_DEP_1) | instskip(NEXT) | instid1(VALU_DEP_1)
	v_cndmask_b32_e64 v22, v23, v24, s2
	v_xor_b32_e32 v22, v22, v3
	s_delay_alu instid0(VALU_DEP_1) | instskip(SKIP_1) | instid1(VALU_DEP_2)
	v_sub_nc_u32_e32 v22, v22, v3
	v_mov_b32_e32 v3, v19
	v_cmp_eq_u32_e64 s2, v22, v21
	v_cmp_ne_u32_e64 s3, v22, v21
	s_delay_alu instid0(VALU_DEP_1) | instskip(NEXT) | instid1(SALU_CYCLE_1)
	s_and_saveexec_b32 s14, s3
	s_xor_b32 s3, exec_lo, s14
; %bb.11:                               ;   in Loop: Header=BB5_10 Depth=2
	v_min_i32_e32 v20, v22, v20
                                        ; implicit-def: $vgpr3
; %bb.12:                               ;   in Loop: Header=BB5_10 Depth=2
	s_or_saveexec_b32 s3, s3
	v_mov_b32_e32 v19, v2
	s_xor_b32 exec_lo, exec_lo, s3
	s_cbranch_execz .LBB5_9
; %bb.13:                               ;   in Loop: Header=BB5_10 Depth=2
	v_mov_b32_e32 v19, v3
	ds_store_b8 v5, v10 offset:16
	s_branch .LBB5_9
.LBB5_14:                               ;   in Loop: Header=BB5_7 Depth=1
	s_or_b32 exec_lo, exec_lo, s13
.LBB5_15:                               ;   in Loop: Header=BB5_7 Depth=1
	s_delay_alu instid0(SALU_CYCLE_1)
	s_or_b32 exec_lo, exec_lo, s12
	ds_bpermute_b32 v2, v12, v19
	s_waitcnt lgkmcnt(0)
	buffer_gl0_inv
	ds_load_u8 v21, v5 offset:16
	v_min_i32_e32 v2, v2, v19
	ds_bpermute_b32 v3, v13, v2
	s_waitcnt lgkmcnt(0)
	v_min_i32_e32 v2, v3, v2
	ds_bpermute_b32 v19, v11, v2
	v_and_b32_e32 v2, 1, v21
	s_delay_alu instid0(VALU_DEP_1) | instskip(NEXT) | instid1(VALU_DEP_1)
	v_cmp_eq_u32_e64 s2, 1, v2
	s_and_b32 s3, vcc_lo, s2
	s_delay_alu instid0(SALU_CYCLE_1)
	s_and_saveexec_b32 s2, s3
	s_cbranch_execz .LBB5_6
; %bb.16:                               ;   in Loop: Header=BB5_7 Depth=1
	ds_load_b32 v2, v4
	s_waitcnt lgkmcnt(0)
	v_add_nc_u32_e32 v2, 1, v2
	ds_store_b32 v4, v2
	s_branch .LBB5_6
.LBB5_17:
	s_or_b32 exec_lo, exec_lo, s11
.LBB5_18:
	s_delay_alu instid0(SALU_CYCLE_1)
	s_mov_b32 s2, exec_lo
	v_cmpx_eq_u32_e32 0, v7
	s_cbranch_execz .LBB5_21
; %bb.19:
	s_clause 0x1
	s_load_b32 s2, s[0:1], 0x28
	s_load_b64 s[0:1], s[0:1], 0x30
	v_mov_b32_e32 v2, 0
	v_cmp_gt_u32_e32 vcc_lo, s4, v1
	s_waitcnt lgkmcnt(0)
	v_mov_b32_e32 v0, s2
	global_store_b32 v2, v0, s[0:1]
	s_and_b32 exec_lo, exec_lo, vcc_lo
	s_cbranch_execz .LBB5_21
; %bb.20:
	ds_load_b32 v3, v4
	v_lshlrev_b64 v[0:1], 2, v[1:2]
	s_delay_alu instid0(VALU_DEP_1) | instskip(NEXT) | instid1(VALU_DEP_2)
	v_add_co_u32 v0, vcc_lo, s0, v0
	v_add_co_ci_u32_e32 v1, vcc_lo, s1, v1, vcc_lo
	s_waitcnt lgkmcnt(0)
	global_store_b32 v[0:1], v3, off offset:4
.LBB5_21:
	s_nop 0
	s_sendmsg sendmsg(MSG_DEALLOC_VGPRS)
	s_endpgm
	.section	.rodata,"a",@progbits
	.p2align	6, 0x0
	.amdhsa_kernel _ZN9rocsparseL46csr2bsr_nnz_wavefront_per_row_multipass_kernelILj256ELj64ELj16EiiEEvT3_S1_S1_S1_S1_21rocsparse_index_base_PKT2_PKS1_S2_PS3_
		.amdhsa_group_segment_fixed_size 20
		.amdhsa_private_segment_fixed_size 0
		.amdhsa_kernarg_size 56
		.amdhsa_user_sgpr_count 15
		.amdhsa_user_sgpr_dispatch_ptr 0
		.amdhsa_user_sgpr_queue_ptr 0
		.amdhsa_user_sgpr_kernarg_segment_ptr 1
		.amdhsa_user_sgpr_dispatch_id 0
		.amdhsa_user_sgpr_private_segment_size 0
		.amdhsa_wavefront_size32 1
		.amdhsa_uses_dynamic_stack 0
		.amdhsa_enable_private_segment 0
		.amdhsa_system_sgpr_workgroup_id_x 1
		.amdhsa_system_sgpr_workgroup_id_y 0
		.amdhsa_system_sgpr_workgroup_id_z 0
		.amdhsa_system_sgpr_workgroup_info 0
		.amdhsa_system_vgpr_workitem_id 0
		.amdhsa_next_free_vgpr 26
		.amdhsa_next_free_sgpr 16
		.amdhsa_reserve_vcc 1
		.amdhsa_float_round_mode_32 0
		.amdhsa_float_round_mode_16_64 0
		.amdhsa_float_denorm_mode_32 3
		.amdhsa_float_denorm_mode_16_64 3
		.amdhsa_dx10_clamp 1
		.amdhsa_ieee_mode 1
		.amdhsa_fp16_overflow 0
		.amdhsa_workgroup_processor_mode 1
		.amdhsa_memory_ordered 1
		.amdhsa_forward_progress 0
		.amdhsa_shared_vgpr_count 0
		.amdhsa_exception_fp_ieee_invalid_op 0
		.amdhsa_exception_fp_denorm_src 0
		.amdhsa_exception_fp_ieee_div_zero 0
		.amdhsa_exception_fp_ieee_overflow 0
		.amdhsa_exception_fp_ieee_underflow 0
		.amdhsa_exception_fp_ieee_inexact 0
		.amdhsa_exception_int_div_zero 0
	.end_amdhsa_kernel
	.section	.text._ZN9rocsparseL46csr2bsr_nnz_wavefront_per_row_multipass_kernelILj256ELj64ELj16EiiEEvT3_S1_S1_S1_S1_21rocsparse_index_base_PKT2_PKS1_S2_PS3_,"axG",@progbits,_ZN9rocsparseL46csr2bsr_nnz_wavefront_per_row_multipass_kernelILj256ELj64ELj16EiiEEvT3_S1_S1_S1_S1_21rocsparse_index_base_PKT2_PKS1_S2_PS3_,comdat
.Lfunc_end5:
	.size	_ZN9rocsparseL46csr2bsr_nnz_wavefront_per_row_multipass_kernelILj256ELj64ELj16EiiEEvT3_S1_S1_S1_S1_21rocsparse_index_base_PKT2_PKS1_S2_PS3_, .Lfunc_end5-_ZN9rocsparseL46csr2bsr_nnz_wavefront_per_row_multipass_kernelILj256ELj64ELj16EiiEEvT3_S1_S1_S1_S1_21rocsparse_index_base_PKT2_PKS1_S2_PS3_
                                        ; -- End function
	.section	.AMDGPU.csdata,"",@progbits
; Kernel info:
; codeLenInByte = 1300
; NumSgprs: 18
; NumVgprs: 26
; ScratchSize: 0
; MemoryBound: 0
; FloatMode: 240
; IeeeMode: 1
; LDSByteSize: 20 bytes/workgroup (compile time only)
; SGPRBlocks: 2
; VGPRBlocks: 3
; NumSGPRsForWavesPerEU: 18
; NumVGPRsForWavesPerEU: 26
; Occupancy: 16
; WaveLimiterHint : 0
; COMPUTE_PGM_RSRC2:SCRATCH_EN: 0
; COMPUTE_PGM_RSRC2:USER_SGPR: 15
; COMPUTE_PGM_RSRC2:TRAP_HANDLER: 0
; COMPUTE_PGM_RSRC2:TGID_X_EN: 1
; COMPUTE_PGM_RSRC2:TGID_Y_EN: 0
; COMPUTE_PGM_RSRC2:TGID_Z_EN: 0
; COMPUTE_PGM_RSRC2:TIDIG_COMP_CNT: 0
	.section	.text._ZN9rocsparseL46csr2bsr_nnz_wavefront_per_row_multipass_kernelILj256ELj32ELj16EiiEEvT3_S1_S1_S1_S1_21rocsparse_index_base_PKT2_PKS1_S2_PS3_,"axG",@progbits,_ZN9rocsparseL46csr2bsr_nnz_wavefront_per_row_multipass_kernelILj256ELj32ELj16EiiEEvT3_S1_S1_S1_S1_21rocsparse_index_base_PKT2_PKS1_S2_PS3_,comdat
	.globl	_ZN9rocsparseL46csr2bsr_nnz_wavefront_per_row_multipass_kernelILj256ELj32ELj16EiiEEvT3_S1_S1_S1_S1_21rocsparse_index_base_PKT2_PKS1_S2_PS3_ ; -- Begin function _ZN9rocsparseL46csr2bsr_nnz_wavefront_per_row_multipass_kernelILj256ELj32ELj16EiiEEvT3_S1_S1_S1_S1_21rocsparse_index_base_PKT2_PKS1_S2_PS3_
	.p2align	8
	.type	_ZN9rocsparseL46csr2bsr_nnz_wavefront_per_row_multipass_kernelILj256ELj32ELj16EiiEEvT3_S1_S1_S1_S1_21rocsparse_index_base_PKT2_PKS1_S2_PS3_,@function
_ZN9rocsparseL46csr2bsr_nnz_wavefront_per_row_multipass_kernelILj256ELj32ELj16EiiEEvT3_S1_S1_S1_S1_21rocsparse_index_base_PKT2_PKS1_S2_PS3_: ; @_ZN9rocsparseL46csr2bsr_nnz_wavefront_per_row_multipass_kernelILj256ELj32ELj16EiiEEvT3_S1_S1_S1_S1_21rocsparse_index_base_PKT2_PKS1_S2_PS3_
; %bb.0:
	s_clause 0x1
	s_load_b128 s[4:7], s[0:1], 0x8
	s_load_b32 s2, s[0:1], 0x0
	v_lshrrev_b32_e32 v5, 5, v0
	v_bfe_u32 v7, v0, 1, 4
	s_load_b64 s[8:9], s[0:1], 0x18
	v_mov_b32_e32 v6, 0
	v_mov_b32_e32 v18, 0
	v_lshl_or_b32 v1, s15, 3, v5
	v_lshlrev_b32_e32 v4, 2, v5
	ds_store_b32 v4, v6
	s_waitcnt lgkmcnt(0)
	s_barrier
	buffer_gl0_inv
	v_mad_u64_u32 v[2:3], null, v1, s6, v[7:8]
	s_delay_alu instid0(VALU_DEP_1) | instskip(SKIP_1) | instid1(VALU_DEP_1)
	v_cmp_gt_i32_e32 vcc_lo, s2, v2
	v_cmp_gt_i32_e64 s2, s6, v7
	s_and_b32 s2, s2, vcc_lo
	s_delay_alu instid0(SALU_CYCLE_1)
	s_and_saveexec_b32 s3, s2
	s_cbranch_execz .LBB6_2
; %bb.1:
	v_ashrrev_i32_e32 v3, 31, v2
	s_delay_alu instid0(VALU_DEP_1) | instskip(NEXT) | instid1(VALU_DEP_1)
	v_lshlrev_b64 v[7:8], 2, v[2:3]
	v_add_co_u32 v7, vcc_lo, s8, v7
	s_delay_alu instid0(VALU_DEP_2)
	v_add_co_ci_u32_e32 v8, vcc_lo, s9, v8, vcc_lo
	global_load_b32 v3, v[7:8], off
	s_waitcnt vmcnt(0)
	v_subrev_nc_u32_e32 v18, s7, v3
.LBB6_2:
	s_or_b32 exec_lo, exec_lo, s3
	s_and_saveexec_b32 s3, s2
	s_cbranch_execz .LBB6_4
; %bb.3:
	v_ashrrev_i32_e32 v3, 31, v2
	s_delay_alu instid0(VALU_DEP_1) | instskip(NEXT) | instid1(VALU_DEP_1)
	v_lshlrev_b64 v[2:3], 2, v[2:3]
	v_add_co_u32 v2, vcc_lo, s8, v2
	s_delay_alu instid0(VALU_DEP_2)
	v_add_co_ci_u32_e32 v3, vcc_lo, s9, v3, vcc_lo
	global_load_b32 v2, v[2:3], off offset:4
	s_waitcnt vmcnt(0)
	v_subrev_nc_u32_e32 v6, s7, v2
.LBB6_4:
	s_or_b32 exec_lo, exec_lo, s3
	v_and_b32_e32 v7, 31, v0
	s_cmp_lt_i32 s5, 1
	s_delay_alu instid0(VALU_DEP_1)
	v_cmp_eq_u32_e32 vcc_lo, 0, v7
	s_cbranch_scc1 .LBB6_18
; %bb.5:
	s_abs_i32 s10, s6
	v_mbcnt_lo_u32_b32 v3, -1, 0
	v_cvt_f32_u32_e32 v2, s10
	s_sub_i32 s2, 0, s10
	s_load_b64 s[8:9], s[0:1], 0x20
	v_dual_mov_b32 v9, 0 :: v_dual_and_b32 v0, 1, v0
	s_delay_alu instid0(VALU_DEP_2)
	v_rcp_iflag_f32_e32 v2, v2
	v_xor_b32_e32 v12, 1, v3
	v_xor_b32_e32 v13, 16, v3
	;; [unrolled: 1-line block ×5, first 2 shown]
	v_lshl_or_b32 v11, v3, 2, 4
	v_mov_b32_e32 v20, 0
	s_mov_b32 s11, 0
	s_ashr_i32 s6, s6, 31
	v_mul_f32_e32 v2, 0x4f7ffffe, v2
	s_delay_alu instid0(VALU_DEP_1) | instskip(NEXT) | instid1(VALU_DEP_1)
	v_cvt_u32_f32_e32 v2, v2
	v_mul_lo_u32 v17, s2, v2
	v_cmp_gt_i32_e64 s2, 32, v12
	s_delay_alu instid0(VALU_DEP_1) | instskip(SKIP_1) | instid1(VALU_DEP_4)
	v_cndmask_b32_e64 v12, v3, v12, s2
	v_cmp_gt_i32_e64 s2, 32, v13
	v_mul_hi_u32 v17, v2, v17
	v_mov_b32_e32 v10, 1
	s_delay_alu instid0(VALU_DEP_4) | instskip(NEXT) | instid1(VALU_DEP_4)
	v_lshlrev_b32_e32 v12, 2, v12
	v_cndmask_b32_e64 v13, v3, v13, s2
	v_cmp_gt_i32_e64 s2, 32, v14
	v_dual_mov_b32 v8, 0x7c :: v_dual_add_nc_u32 v17, v2, v17
	s_delay_alu instid0(VALU_DEP_3) | instskip(NEXT) | instid1(VALU_DEP_3)
	v_lshlrev_b32_e32 v13, 2, v13
	v_cndmask_b32_e64 v14, v3, v14, s2
	v_cmp_gt_i32_e64 s2, 32, v15
	s_delay_alu instid0(VALU_DEP_2) | instskip(NEXT) | instid1(VALU_DEP_2)
	v_lshlrev_b32_e32 v14, 2, v14
	v_cndmask_b32_e64 v15, v3, v15, s2
	v_cmp_gt_i32_e64 s2, 32, v16
	s_delay_alu instid0(VALU_DEP_2) | instskip(NEXT) | instid1(VALU_DEP_2)
	v_lshlrev_b32_e32 v15, 2, v15
	v_cndmask_b32_e64 v3, v3, v16, s2
	s_delay_alu instid0(VALU_DEP_1)
	v_lshlrev_b32_e32 v16, 2, v3
	s_branch .LBB6_7
.LBB6_6:                                ;   in Loop: Header=BB6_7 Depth=1
	s_or_b32 exec_lo, exec_lo, s2
	ds_bpermute_b32 v2, v13, v19
	s_waitcnt lgkmcnt(0)
	buffer_gl0_inv
	v_min_i32_e32 v2, v2, v19
	ds_bpermute_b32 v3, v14, v2
	s_waitcnt lgkmcnt(0)
	v_min_i32_e32 v2, v3, v2
	ds_bpermute_b32 v3, v15, v2
	s_waitcnt lgkmcnt(0)
	;; [unrolled: 3-line block ×5, first 2 shown]
	v_cmp_le_i32_e64 s2, s5, v20
	s_delay_alu instid0(VALU_DEP_1) | instskip(NEXT) | instid1(SALU_CYCLE_1)
	s_or_b32 s11, s2, s11
	s_and_not1_b32 exec_lo, exec_lo, s11
	s_cbranch_execz .LBB6_17
.LBB6_7:                                ; =>This Loop Header: Depth=1
                                        ;     Child Loop BB6_10 Depth 2
	v_dual_mov_b32 v19, s5 :: v_dual_add_nc_u32 v2, v18, v0
	v_mov_b32_e32 v18, v6
	s_mov_b32 s12, exec_lo
	ds_store_b8 v5, v9 offset:32
	s_waitcnt lgkmcnt(0)
	buffer_gl0_inv
	v_cmpx_lt_i32_e64 v2, v6
	s_cbranch_execz .LBB6_15
; %bb.8:                                ;   in Loop: Header=BB6_7 Depth=1
	v_dual_mov_b32 v19, s5 :: v_dual_mov_b32 v18, v6
	s_mov_b32 s13, 0
	s_branch .LBB6_10
.LBB6_9:                                ;   in Loop: Header=BB6_10 Depth=2
	s_or_b32 exec_lo, exec_lo, s3
	v_add_nc_u32_e32 v2, 2, v2
	s_xor_b32 s2, s2, -1
	s_delay_alu instid0(VALU_DEP_1) | instskip(NEXT) | instid1(VALU_DEP_1)
	v_cmp_ge_i32_e64 s3, v2, v6
	s_or_b32 s2, s2, s3
	s_delay_alu instid0(SALU_CYCLE_1) | instskip(NEXT) | instid1(SALU_CYCLE_1)
	s_and_b32 s2, exec_lo, s2
	s_or_b32 s13, s2, s13
	s_delay_alu instid0(SALU_CYCLE_1)
	s_and_not1_b32 exec_lo, exec_lo, s13
	s_cbranch_execz .LBB6_14
.LBB6_10:                               ;   Parent Loop BB6_7 Depth=1
                                        ; =>  This Inner Loop Header: Depth=2
	v_ashrrev_i32_e32 v3, 31, v2
	s_delay_alu instid0(VALU_DEP_1) | instskip(NEXT) | instid1(VALU_DEP_1)
	v_lshlrev_b64 v[21:22], 2, v[2:3]
	v_add_co_u32 v21, s2, s8, v21
	s_delay_alu instid0(VALU_DEP_1) | instskip(SKIP_3) | instid1(VALU_DEP_1)
	v_add_co_ci_u32_e64 v22, s2, s9, v22, s2
	global_load_b32 v3, v[21:22], off
	s_waitcnt vmcnt(0)
	v_subrev_nc_u32_e32 v3, s7, v3
	v_sub_nc_u32_e32 v21, 0, v3
	s_delay_alu instid0(VALU_DEP_1) | instskip(SKIP_1) | instid1(VALU_DEP_2)
	v_max_i32_e32 v21, v3, v21
	v_ashrrev_i32_e32 v3, 31, v3
	v_mul_hi_u32 v22, v21, v17
	s_delay_alu instid0(VALU_DEP_2) | instskip(NEXT) | instid1(VALU_DEP_2)
	v_xor_b32_e32 v3, s6, v3
	v_mul_lo_u32 v23, v22, s10
	s_delay_alu instid0(VALU_DEP_1) | instskip(SKIP_1) | instid1(VALU_DEP_2)
	v_sub_nc_u32_e32 v21, v21, v23
	v_add_nc_u32_e32 v23, 1, v22
	v_subrev_nc_u32_e32 v24, s10, v21
	v_cmp_le_u32_e64 s2, s10, v21
	s_delay_alu instid0(VALU_DEP_1) | instskip(NEXT) | instid1(VALU_DEP_3)
	v_cndmask_b32_e64 v22, v22, v23, s2
	v_cndmask_b32_e64 v21, v21, v24, s2
	s_delay_alu instid0(VALU_DEP_2) | instskip(NEXT) | instid1(VALU_DEP_2)
	v_add_nc_u32_e32 v23, 1, v22
	v_cmp_le_u32_e64 s2, s10, v21
	s_delay_alu instid0(VALU_DEP_1) | instskip(NEXT) | instid1(VALU_DEP_1)
	v_cndmask_b32_e64 v21, v22, v23, s2
	v_xor_b32_e32 v21, v21, v3
	s_delay_alu instid0(VALU_DEP_1) | instskip(SKIP_1) | instid1(VALU_DEP_2)
	v_sub_nc_u32_e32 v21, v21, v3
	v_mov_b32_e32 v3, v18
	v_cmp_eq_u32_e64 s2, v21, v20
	v_cmp_ne_u32_e64 s3, v21, v20
	s_delay_alu instid0(VALU_DEP_1) | instskip(NEXT) | instid1(SALU_CYCLE_1)
	s_and_saveexec_b32 s14, s3
	s_xor_b32 s3, exec_lo, s14
; %bb.11:                               ;   in Loop: Header=BB6_10 Depth=2
	v_min_i32_e32 v19, v21, v19
                                        ; implicit-def: $vgpr3
; %bb.12:                               ;   in Loop: Header=BB6_10 Depth=2
	s_or_saveexec_b32 s3, s3
	v_mov_b32_e32 v18, v2
	s_xor_b32 exec_lo, exec_lo, s3
	s_cbranch_execz .LBB6_9
; %bb.13:                               ;   in Loop: Header=BB6_10 Depth=2
	v_mov_b32_e32 v18, v3
	ds_store_b8 v5, v10 offset:32
	s_branch .LBB6_9
.LBB6_14:                               ;   in Loop: Header=BB6_7 Depth=1
	s_or_b32 exec_lo, exec_lo, s13
.LBB6_15:                               ;   in Loop: Header=BB6_7 Depth=1
	s_delay_alu instid0(SALU_CYCLE_1)
	s_or_b32 exec_lo, exec_lo, s12
	ds_bpermute_b32 v2, v12, v18
	s_waitcnt lgkmcnt(0)
	buffer_gl0_inv
	ds_load_u8 v3, v5 offset:32
	v_min_i32_e32 v2, v2, v18
	ds_bpermute_b32 v18, v11, v2
	s_waitcnt lgkmcnt(1)
	v_and_b32_e32 v2, 1, v3
	s_delay_alu instid0(VALU_DEP_1) | instskip(NEXT) | instid1(VALU_DEP_1)
	v_cmp_eq_u32_e64 s2, 1, v2
	s_and_b32 s3, vcc_lo, s2
	s_delay_alu instid0(SALU_CYCLE_1)
	s_and_saveexec_b32 s2, s3
	s_cbranch_execz .LBB6_6
; %bb.16:                               ;   in Loop: Header=BB6_7 Depth=1
	ds_load_b32 v2, v4
	s_waitcnt lgkmcnt(0)
	v_add_nc_u32_e32 v2, 1, v2
	ds_store_b32 v4, v2
	s_branch .LBB6_6
.LBB6_17:
	s_or_b32 exec_lo, exec_lo, s11
.LBB6_18:
	s_delay_alu instid0(SALU_CYCLE_1)
	s_mov_b32 s2, exec_lo
	v_cmpx_eq_u32_e32 0, v7
	s_cbranch_execz .LBB6_21
; %bb.19:
	s_clause 0x1
	s_load_b32 s2, s[0:1], 0x28
	s_load_b64 s[0:1], s[0:1], 0x30
	v_mov_b32_e32 v2, 0
	v_cmp_gt_u32_e32 vcc_lo, s4, v1
	s_waitcnt lgkmcnt(0)
	v_mov_b32_e32 v0, s2
	global_store_b32 v2, v0, s[0:1]
	s_and_b32 exec_lo, exec_lo, vcc_lo
	s_cbranch_execz .LBB6_21
; %bb.20:
	ds_load_b32 v3, v4
	v_lshlrev_b64 v[0:1], 2, v[1:2]
	s_delay_alu instid0(VALU_DEP_1) | instskip(NEXT) | instid1(VALU_DEP_2)
	v_add_co_u32 v0, vcc_lo, s0, v0
	v_add_co_ci_u32_e32 v1, vcc_lo, s1, v1, vcc_lo
	s_waitcnt lgkmcnt(0)
	global_store_b32 v[0:1], v3, off offset:4
.LBB6_21:
	s_nop 0
	s_sendmsg sendmsg(MSG_DEALLOC_VGPRS)
	s_endpgm
	.section	.rodata,"a",@progbits
	.p2align	6, 0x0
	.amdhsa_kernel _ZN9rocsparseL46csr2bsr_nnz_wavefront_per_row_multipass_kernelILj256ELj32ELj16EiiEEvT3_S1_S1_S1_S1_21rocsparse_index_base_PKT2_PKS1_S2_PS3_
		.amdhsa_group_segment_fixed_size 40
		.amdhsa_private_segment_fixed_size 0
		.amdhsa_kernarg_size 56
		.amdhsa_user_sgpr_count 15
		.amdhsa_user_sgpr_dispatch_ptr 0
		.amdhsa_user_sgpr_queue_ptr 0
		.amdhsa_user_sgpr_kernarg_segment_ptr 1
		.amdhsa_user_sgpr_dispatch_id 0
		.amdhsa_user_sgpr_private_segment_size 0
		.amdhsa_wavefront_size32 1
		.amdhsa_uses_dynamic_stack 0
		.amdhsa_enable_private_segment 0
		.amdhsa_system_sgpr_workgroup_id_x 1
		.amdhsa_system_sgpr_workgroup_id_y 0
		.amdhsa_system_sgpr_workgroup_id_z 0
		.amdhsa_system_sgpr_workgroup_info 0
		.amdhsa_system_vgpr_workitem_id 0
		.amdhsa_next_free_vgpr 25
		.amdhsa_next_free_sgpr 16
		.amdhsa_reserve_vcc 1
		.amdhsa_float_round_mode_32 0
		.amdhsa_float_round_mode_16_64 0
		.amdhsa_float_denorm_mode_32 3
		.amdhsa_float_denorm_mode_16_64 3
		.amdhsa_dx10_clamp 1
		.amdhsa_ieee_mode 1
		.amdhsa_fp16_overflow 0
		.amdhsa_workgroup_processor_mode 1
		.amdhsa_memory_ordered 1
		.amdhsa_forward_progress 0
		.amdhsa_shared_vgpr_count 0
		.amdhsa_exception_fp_ieee_invalid_op 0
		.amdhsa_exception_fp_denorm_src 0
		.amdhsa_exception_fp_ieee_div_zero 0
		.amdhsa_exception_fp_ieee_overflow 0
		.amdhsa_exception_fp_ieee_underflow 0
		.amdhsa_exception_fp_ieee_inexact 0
		.amdhsa_exception_int_div_zero 0
	.end_amdhsa_kernel
	.section	.text._ZN9rocsparseL46csr2bsr_nnz_wavefront_per_row_multipass_kernelILj256ELj32ELj16EiiEEvT3_S1_S1_S1_S1_21rocsparse_index_base_PKT2_PKS1_S2_PS3_,"axG",@progbits,_ZN9rocsparseL46csr2bsr_nnz_wavefront_per_row_multipass_kernelILj256ELj32ELj16EiiEEvT3_S1_S1_S1_S1_21rocsparse_index_base_PKT2_PKS1_S2_PS3_,comdat
.Lfunc_end6:
	.size	_ZN9rocsparseL46csr2bsr_nnz_wavefront_per_row_multipass_kernelILj256ELj32ELj16EiiEEvT3_S1_S1_S1_S1_21rocsparse_index_base_PKT2_PKS1_S2_PS3_, .Lfunc_end6-_ZN9rocsparseL46csr2bsr_nnz_wavefront_per_row_multipass_kernelILj256ELj32ELj16EiiEEvT3_S1_S1_S1_S1_21rocsparse_index_base_PKT2_PKS1_S2_PS3_
                                        ; -- End function
	.section	.AMDGPU.csdata,"",@progbits
; Kernel info:
; codeLenInByte = 1248
; NumSgprs: 18
; NumVgprs: 25
; ScratchSize: 0
; MemoryBound: 0
; FloatMode: 240
; IeeeMode: 1
; LDSByteSize: 40 bytes/workgroup (compile time only)
; SGPRBlocks: 2
; VGPRBlocks: 3
; NumSGPRsForWavesPerEU: 18
; NumVGPRsForWavesPerEU: 25
; Occupancy: 16
; WaveLimiterHint : 0
; COMPUTE_PGM_RSRC2:SCRATCH_EN: 0
; COMPUTE_PGM_RSRC2:USER_SGPR: 15
; COMPUTE_PGM_RSRC2:TRAP_HANDLER: 0
; COMPUTE_PGM_RSRC2:TGID_X_EN: 1
; COMPUTE_PGM_RSRC2:TGID_Y_EN: 0
; COMPUTE_PGM_RSRC2:TGID_Z_EN: 0
; COMPUTE_PGM_RSRC2:TIDIG_COMP_CNT: 0
	.section	.text._ZN9rocsparseL42csr2bsr_nnz_block_per_row_multipass_kernelILj256ELj32EiiEEvT2_S1_S1_S1_S1_21rocsparse_index_base_PKT1_PKS1_S2_PS3_,"axG",@progbits,_ZN9rocsparseL42csr2bsr_nnz_block_per_row_multipass_kernelILj256ELj32EiiEEvT2_S1_S1_S1_S1_21rocsparse_index_base_PKT1_PKS1_S2_PS3_,comdat
	.globl	_ZN9rocsparseL42csr2bsr_nnz_block_per_row_multipass_kernelILj256ELj32EiiEEvT2_S1_S1_S1_S1_21rocsparse_index_base_PKT1_PKS1_S2_PS3_ ; -- Begin function _ZN9rocsparseL42csr2bsr_nnz_block_per_row_multipass_kernelILj256ELj32EiiEEvT2_S1_S1_S1_S1_21rocsparse_index_base_PKT1_PKS1_S2_PS3_
	.p2align	8
	.type	_ZN9rocsparseL42csr2bsr_nnz_block_per_row_multipass_kernelILj256ELj32EiiEEvT2_S1_S1_S1_S1_21rocsparse_index_base_PKT1_PKS1_S2_PS3_,@function
_ZN9rocsparseL42csr2bsr_nnz_block_per_row_multipass_kernelILj256ELj32EiiEEvT2_S1_S1_S1_S1_21rocsparse_index_base_PKT1_PKS1_S2_PS3_: ; @_ZN9rocsparseL42csr2bsr_nnz_block_per_row_multipass_kernelILj256ELj32EiiEEvT2_S1_S1_S1_S1_21rocsparse_index_base_PKT1_PKS1_S2_PS3_
; %bb.0:
	s_mov_b32 s16, s15
	s_clause 0x1
	s_load_b128 s[12:15], s[0:1], 0xc
	s_load_b32 s2, s[0:1], 0x0
	v_lshrrev_b32_e32 v4, 3, v0
	s_load_b64 s[4:5], s[0:1], 0x18
	v_mov_b32_e32 v3, 0
	v_mov_b32_e32 v13, 0
	ds_store_b32 v3, v3 offset:1024
	s_waitcnt lgkmcnt(0)
	s_barrier
	buffer_gl0_inv
	v_mad_u64_u32 v[1:2], null, s16, s13, v[4:5]
	s_delay_alu instid0(VALU_DEP_1) | instskip(SKIP_1) | instid1(VALU_DEP_1)
	v_cmp_gt_i32_e32 vcc_lo, s2, v1
	v_cmp_gt_i32_e64 s2, s13, v4
	s_and_b32 s2, s2, vcc_lo
	s_delay_alu instid0(SALU_CYCLE_1)
	s_and_saveexec_b32 s3, s2
	s_cbranch_execnz .LBB7_3
; %bb.1:
	s_or_b32 exec_lo, exec_lo, s3
	s_and_saveexec_b32 s3, s2
	s_cbranch_execnz .LBB7_4
.LBB7_2:
	s_or_b32 exec_lo, exec_lo, s3
	v_cmp_eq_u32_e64 s2, 0, v0
	s_cmp_lt_i32 s12, 1
	s_cbranch_scc0 .LBB7_5
	s_branch .LBB7_33
.LBB7_3:
	v_ashrrev_i32_e32 v2, 31, v1
	s_delay_alu instid0(VALU_DEP_1) | instskip(NEXT) | instid1(VALU_DEP_1)
	v_lshlrev_b64 v[4:5], 2, v[1:2]
	v_add_co_u32 v4, vcc_lo, s4, v4
	s_delay_alu instid0(VALU_DEP_2)
	v_add_co_ci_u32_e32 v5, vcc_lo, s5, v5, vcc_lo
	global_load_b32 v2, v[4:5], off
	s_waitcnt vmcnt(0)
	v_subrev_nc_u32_e32 v13, s14, v2
	s_or_b32 exec_lo, exec_lo, s3
	s_and_saveexec_b32 s3, s2
	s_cbranch_execz .LBB7_2
.LBB7_4:
	v_ashrrev_i32_e32 v2, 31, v1
	s_delay_alu instid0(VALU_DEP_1) | instskip(NEXT) | instid1(VALU_DEP_1)
	v_lshlrev_b64 v[1:2], 2, v[1:2]
	v_add_co_u32 v1, vcc_lo, s4, v1
	s_delay_alu instid0(VALU_DEP_2)
	v_add_co_ci_u32_e32 v2, vcc_lo, s5, v2, vcc_lo
	global_load_b32 v1, v[1:2], off offset:4
	s_waitcnt vmcnt(0)
	v_subrev_nc_u32_e32 v3, s14, v1
	s_or_b32 exec_lo, exec_lo, s3
	v_cmp_eq_u32_e64 s2, 0, v0
	s_cmp_lt_i32 s12, 1
	s_cbranch_scc1 .LBB7_33
.LBB7_5:
	s_abs_i32 s11, s13
	v_mbcnt_lo_u32_b32 v2, -1, 0
	v_cvt_f32_u32_e32 v1, s11
	s_sub_i32 s10, 0, s11
	s_load_b64 s[18:19], s[0:1], 0x20
	v_dual_mov_b32 v6, 0 :: v_dual_lshlrev_b32 v5, 2, v0
	s_delay_alu instid0(VALU_DEP_2)
	v_rcp_iflag_f32_e32 v1, v1
	v_and_b32_e32 v4, 7, v0
	v_xor_b32_e32 v7, 4, v2
	v_xor_b32_e32 v9, 2, v2
	;; [unrolled: 1-line block ×3, first 2 shown]
	v_cmp_gt_u32_e64 s3, 0x80, v0
	v_cmp_gt_u32_e64 s4, 64, v0
	v_cmp_gt_i32_e32 vcc_lo, 32, v7
	v_cmp_gt_u32_e64 s5, 32, v0
	v_cmp_gt_u32_e64 s6, 16, v0
	v_mul_f32_e32 v1, 0x4f7ffffe, v1
	v_cmp_gt_u32_e64 s7, 8, v0
	v_cndmask_b32_e32 v11, v2, v7, vcc_lo
	v_cmp_gt_i32_e32 vcc_lo, 32, v9
	v_cmp_gt_u32_e64 s8, 4, v0
	v_cvt_u32_f32_e32 v1, v1
	v_cmp_gt_u32_e64 s9, 2, v0
	v_dual_mov_b32 v7, 1 :: v_dual_cndmask_b32 v12, v2, v9
	v_cmp_gt_i32_e32 vcc_lo, 32, v10
	s_delay_alu instid0(VALU_DEP_4) | instskip(SKIP_1) | instid1(VALU_DEP_3)
	v_mul_lo_u32 v8, s10, v1
	s_ashr_i32 s13, s13, 31
	v_dual_cndmask_b32 v15, v2, v10 :: v_dual_lshlrev_b32 v10, 2, v12
	v_lshlrev_b32_e32 v9, 2, v11
	s_delay_alu instid0(VALU_DEP_3) | instskip(SKIP_1) | instid1(VALU_DEP_4)
	v_mul_hi_u32 v14, v1, v8
	v_lshl_or_b32 v8, v2, 2, 28
	v_lshlrev_b32_e32 v11, 2, v15
	s_delay_alu instid0(VALU_DEP_3)
	v_dual_mov_b32 v15, 0 :: v_dual_add_nc_u32 v12, v1, v14
	s_branch .LBB7_7
.LBB7_6:                                ;   in Loop: Header=BB7_7 Depth=1
	s_or_b32 exec_lo, exec_lo, s10
	s_waitcnt lgkmcnt(0)
	s_barrier
	buffer_gl0_inv
	ds_load_b32 v15, v6
	s_waitcnt lgkmcnt(0)
	s_barrier
	buffer_gl0_inv
	v_cmp_gt_i32_e32 vcc_lo, s12, v15
	s_cbranch_vccz .LBB7_33
.LBB7_7:                                ; =>This Loop Header: Depth=1
                                        ;     Child Loop BB7_10 Depth 2
	v_dual_mov_b32 v14, s12 :: v_dual_add_nc_u32 v1, v13, v4
	v_mov_b32_e32 v13, v3
	s_mov_b32 s15, exec_lo
	ds_store_b8 v6, v6 offset:1028
	s_waitcnt lgkmcnt(0)
	s_barrier
	buffer_gl0_inv
	v_cmpx_lt_i32_e64 v1, v3
	s_cbranch_execz .LBB7_15
; %bb.8:                                ;   in Loop: Header=BB7_7 Depth=1
	v_dual_mov_b32 v14, s12 :: v_dual_mov_b32 v13, v3
	s_mov_b32 s17, 0
	s_branch .LBB7_10
.LBB7_9:                                ;   in Loop: Header=BB7_10 Depth=2
	s_or_b32 exec_lo, exec_lo, s10
	v_add_nc_u32_e32 v1, 8, v1
	s_xor_b32 s20, vcc_lo, -1
	s_delay_alu instid0(VALU_DEP_1) | instskip(NEXT) | instid1(VALU_DEP_1)
	v_cmp_ge_i32_e64 s10, v1, v3
	s_or_b32 s10, s20, s10
	s_delay_alu instid0(SALU_CYCLE_1) | instskip(NEXT) | instid1(SALU_CYCLE_1)
	s_and_b32 s10, exec_lo, s10
	s_or_b32 s17, s10, s17
	s_delay_alu instid0(SALU_CYCLE_1)
	s_and_not1_b32 exec_lo, exec_lo, s17
	s_cbranch_execz .LBB7_14
.LBB7_10:                               ;   Parent Loop BB7_7 Depth=1
                                        ; =>  This Inner Loop Header: Depth=2
	v_ashrrev_i32_e32 v2, 31, v1
	s_delay_alu instid0(VALU_DEP_1) | instskip(NEXT) | instid1(VALU_DEP_1)
	v_lshlrev_b64 v[16:17], 2, v[1:2]
	v_add_co_u32 v16, vcc_lo, s18, v16
	s_delay_alu instid0(VALU_DEP_2) | instskip(SKIP_3) | instid1(VALU_DEP_1)
	v_add_co_ci_u32_e32 v17, vcc_lo, s19, v17, vcc_lo
	global_load_b32 v2, v[16:17], off
	s_waitcnt vmcnt(0)
	v_subrev_nc_u32_e32 v2, s14, v2
	v_sub_nc_u32_e32 v16, 0, v2
	s_delay_alu instid0(VALU_DEP_1) | instskip(SKIP_1) | instid1(VALU_DEP_2)
	v_max_i32_e32 v16, v2, v16
	v_ashrrev_i32_e32 v2, 31, v2
	v_mul_hi_u32 v17, v16, v12
	s_delay_alu instid0(VALU_DEP_2) | instskip(NEXT) | instid1(VALU_DEP_2)
	v_xor_b32_e32 v2, s13, v2
	v_mul_lo_u32 v18, v17, s11
	s_delay_alu instid0(VALU_DEP_1) | instskip(SKIP_1) | instid1(VALU_DEP_2)
	v_sub_nc_u32_e32 v16, v16, v18
	v_add_nc_u32_e32 v18, 1, v17
	v_subrev_nc_u32_e32 v19, s11, v16
	v_cmp_le_u32_e32 vcc_lo, s11, v16
	s_delay_alu instid0(VALU_DEP_2) | instskip(NEXT) | instid1(VALU_DEP_1)
	v_dual_cndmask_b32 v17, v17, v18 :: v_dual_cndmask_b32 v16, v16, v19
	v_add_nc_u32_e32 v18, 1, v17
	s_delay_alu instid0(VALU_DEP_2) | instskip(NEXT) | instid1(VALU_DEP_2)
	v_cmp_le_u32_e32 vcc_lo, s11, v16
	v_cndmask_b32_e32 v16, v17, v18, vcc_lo
	s_delay_alu instid0(VALU_DEP_1) | instskip(NEXT) | instid1(VALU_DEP_1)
	v_xor_b32_e32 v16, v16, v2
	v_sub_nc_u32_e32 v16, v16, v2
	v_mov_b32_e32 v2, v13
	s_delay_alu instid0(VALU_DEP_2) | instskip(SKIP_1) | instid1(VALU_DEP_1)
	v_cmp_eq_u32_e32 vcc_lo, v16, v15
	v_cmp_ne_u32_e64 s10, v16, v15
	s_and_saveexec_b32 s20, s10
	s_delay_alu instid0(SALU_CYCLE_1)
	s_xor_b32 s10, exec_lo, s20
; %bb.11:                               ;   in Loop: Header=BB7_10 Depth=2
	v_min_i32_e32 v14, v16, v14
                                        ; implicit-def: $vgpr2
; %bb.12:                               ;   in Loop: Header=BB7_10 Depth=2
	s_or_saveexec_b32 s10, s10
	v_mov_b32_e32 v13, v1
	s_xor_b32 exec_lo, exec_lo, s10
	s_cbranch_execz .LBB7_9
; %bb.13:                               ;   in Loop: Header=BB7_10 Depth=2
	v_mov_b32_e32 v13, v2
	ds_store_b8 v6, v7 offset:1028
	s_branch .LBB7_9
.LBB7_14:                               ;   in Loop: Header=BB7_7 Depth=1
	s_or_b32 exec_lo, exec_lo, s17
.LBB7_15:                               ;   in Loop: Header=BB7_7 Depth=1
	s_delay_alu instid0(SALU_CYCLE_1)
	s_or_b32 exec_lo, exec_lo, s15
	ds_bpermute_b32 v1, v9, v13
	s_waitcnt lgkmcnt(0)
	s_barrier
	buffer_gl0_inv
	ds_load_u8 v15, v6 offset:1028
	v_min_i32_e32 v1, v1, v13
	s_waitcnt lgkmcnt(0)
	v_readfirstlane_b32 s10, v15
	ds_bpermute_b32 v2, v10, v1
	s_bitcmp1_b32 s10, 0
	s_cselect_b32 s10, -1, 0
	s_delay_alu instid0(SALU_CYCLE_1)
	s_and_b32 s15, s2, s10
	s_waitcnt lgkmcnt(0)
	v_min_i32_e32 v1, v2, v1
	ds_bpermute_b32 v2, v11, v1
	s_waitcnt lgkmcnt(0)
	v_min_i32_e32 v1, v2, v1
	ds_bpermute_b32 v13, v8, v1
	s_and_saveexec_b32 s10, s15
	s_cbranch_execz .LBB7_17
; %bb.16:                               ;   in Loop: Header=BB7_7 Depth=1
	ds_load_b32 v1, v6 offset:1024
	s_waitcnt lgkmcnt(0)
	v_add_nc_u32_e32 v1, 1, v1
	ds_store_b32 v6, v1 offset:1024
.LBB7_17:                               ;   in Loop: Header=BB7_7 Depth=1
	s_or_b32 exec_lo, exec_lo, s10
	ds_store_b32 v5, v14
	s_waitcnt lgkmcnt(0)
	s_barrier
	buffer_gl0_inv
	s_and_saveexec_b32 s10, s3
	s_cbranch_execz .LBB7_19
; %bb.18:                               ;   in Loop: Header=BB7_7 Depth=1
	ds_load_2addr_stride64_b32 v[1:2], v5 offset1:2
	s_waitcnt lgkmcnt(0)
	v_min_i32_e32 v1, v2, v1
	ds_store_b32 v5, v1
.LBB7_19:                               ;   in Loop: Header=BB7_7 Depth=1
	s_or_b32 exec_lo, exec_lo, s10
	s_waitcnt lgkmcnt(0)
	s_barrier
	buffer_gl0_inv
	s_and_saveexec_b32 s10, s4
	s_cbranch_execz .LBB7_21
; %bb.20:                               ;   in Loop: Header=BB7_7 Depth=1
	ds_load_2addr_stride64_b32 v[1:2], v5 offset1:1
	s_waitcnt lgkmcnt(0)
	v_min_i32_e32 v1, v2, v1
	ds_store_b32 v5, v1
.LBB7_21:                               ;   in Loop: Header=BB7_7 Depth=1
	s_or_b32 exec_lo, exec_lo, s10
	s_waitcnt lgkmcnt(0)
	s_barrier
	buffer_gl0_inv
	s_and_saveexec_b32 s10, s5
	s_cbranch_execz .LBB7_23
; %bb.22:                               ;   in Loop: Header=BB7_7 Depth=1
	ds_load_2addr_b32 v[1:2], v5 offset1:32
	s_waitcnt lgkmcnt(0)
	v_min_i32_e32 v1, v2, v1
	ds_store_b32 v5, v1
.LBB7_23:                               ;   in Loop: Header=BB7_7 Depth=1
	s_or_b32 exec_lo, exec_lo, s10
	s_waitcnt lgkmcnt(0)
	s_barrier
	buffer_gl0_inv
	s_and_saveexec_b32 s10, s6
	s_cbranch_execz .LBB7_25
; %bb.24:                               ;   in Loop: Header=BB7_7 Depth=1
	ds_load_2addr_b32 v[1:2], v5 offset1:16
	s_waitcnt lgkmcnt(0)
	v_min_i32_e32 v1, v2, v1
	ds_store_b32 v5, v1
.LBB7_25:                               ;   in Loop: Header=BB7_7 Depth=1
	;; [unrolled: 12-line block ×5, first 2 shown]
	s_or_b32 exec_lo, exec_lo, s10
	s_waitcnt lgkmcnt(0)
	s_barrier
	buffer_gl0_inv
	s_and_saveexec_b32 s10, s2
	s_cbranch_execz .LBB7_6
; %bb.32:                               ;   in Loop: Header=BB7_7 Depth=1
	ds_load_b64 v[1:2], v6
	s_waitcnt lgkmcnt(0)
	v_min_i32_e32 v1, v2, v1
	ds_store_b32 v6, v1
	s_branch .LBB7_6
.LBB7_33:
	s_mov_b32 s2, exec_lo
	v_cmpx_eq_u32_e32 0, v0
	s_cbranch_execz .LBB7_35
; %bb.34:
	s_load_b32 s2, s[0:1], 0x28
	v_mov_b32_e32 v0, 0
	s_load_b64 s[0:1], s[0:1], 0x30
	s_ashr_i32 s17, s16, 31
	ds_load_b32 v1, v0 offset:1024
	s_waitcnt lgkmcnt(0)
	v_mov_b32_e32 v2, s2
	s_lshl_b64 s[2:3], s[16:17], 2
	s_delay_alu instid0(SALU_CYCLE_1)
	s_add_u32 s2, s0, s2
	s_addc_u32 s3, s1, s3
	s_clause 0x1
	global_store_b32 v0, v2, s[0:1]
	global_store_b32 v0, v1, s[2:3] offset:4
.LBB7_35:
	s_nop 0
	s_sendmsg sendmsg(MSG_DEALLOC_VGPRS)
	s_endpgm
	.section	.rodata,"a",@progbits
	.p2align	6, 0x0
	.amdhsa_kernel _ZN9rocsparseL42csr2bsr_nnz_block_per_row_multipass_kernelILj256ELj32EiiEEvT2_S1_S1_S1_S1_21rocsparse_index_base_PKT1_PKS1_S2_PS3_
		.amdhsa_group_segment_fixed_size 1032
		.amdhsa_private_segment_fixed_size 0
		.amdhsa_kernarg_size 56
		.amdhsa_user_sgpr_count 15
		.amdhsa_user_sgpr_dispatch_ptr 0
		.amdhsa_user_sgpr_queue_ptr 0
		.amdhsa_user_sgpr_kernarg_segment_ptr 1
		.amdhsa_user_sgpr_dispatch_id 0
		.amdhsa_user_sgpr_private_segment_size 0
		.amdhsa_wavefront_size32 1
		.amdhsa_uses_dynamic_stack 0
		.amdhsa_enable_private_segment 0
		.amdhsa_system_sgpr_workgroup_id_x 1
		.amdhsa_system_sgpr_workgroup_id_y 0
		.amdhsa_system_sgpr_workgroup_id_z 0
		.amdhsa_system_sgpr_workgroup_info 0
		.amdhsa_system_vgpr_workitem_id 0
		.amdhsa_next_free_vgpr 20
		.amdhsa_next_free_sgpr 21
		.amdhsa_reserve_vcc 1
		.amdhsa_float_round_mode_32 0
		.amdhsa_float_round_mode_16_64 0
		.amdhsa_float_denorm_mode_32 3
		.amdhsa_float_denorm_mode_16_64 3
		.amdhsa_dx10_clamp 1
		.amdhsa_ieee_mode 1
		.amdhsa_fp16_overflow 0
		.amdhsa_workgroup_processor_mode 1
		.amdhsa_memory_ordered 1
		.amdhsa_forward_progress 0
		.amdhsa_shared_vgpr_count 0
		.amdhsa_exception_fp_ieee_invalid_op 0
		.amdhsa_exception_fp_denorm_src 0
		.amdhsa_exception_fp_ieee_div_zero 0
		.amdhsa_exception_fp_ieee_overflow 0
		.amdhsa_exception_fp_ieee_underflow 0
		.amdhsa_exception_fp_ieee_inexact 0
		.amdhsa_exception_int_div_zero 0
	.end_amdhsa_kernel
	.section	.text._ZN9rocsparseL42csr2bsr_nnz_block_per_row_multipass_kernelILj256ELj32EiiEEvT2_S1_S1_S1_S1_21rocsparse_index_base_PKT1_PKS1_S2_PS3_,"axG",@progbits,_ZN9rocsparseL42csr2bsr_nnz_block_per_row_multipass_kernelILj256ELj32EiiEEvT2_S1_S1_S1_S1_21rocsparse_index_base_PKT1_PKS1_S2_PS3_,comdat
.Lfunc_end7:
	.size	_ZN9rocsparseL42csr2bsr_nnz_block_per_row_multipass_kernelILj256ELj32EiiEEvT2_S1_S1_S1_S1_21rocsparse_index_base_PKT1_PKS1_S2_PS3_, .Lfunc_end7-_ZN9rocsparseL42csr2bsr_nnz_block_per_row_multipass_kernelILj256ELj32EiiEEvT2_S1_S1_S1_S1_21rocsparse_index_base_PKT1_PKS1_S2_PS3_
                                        ; -- End function
	.section	.AMDGPU.csdata,"",@progbits
; Kernel info:
; codeLenInByte = 1556
; NumSgprs: 23
; NumVgprs: 20
; ScratchSize: 0
; MemoryBound: 0
; FloatMode: 240
; IeeeMode: 1
; LDSByteSize: 1032 bytes/workgroup (compile time only)
; SGPRBlocks: 2
; VGPRBlocks: 2
; NumSGPRsForWavesPerEU: 23
; NumVGPRsForWavesPerEU: 20
; Occupancy: 16
; WaveLimiterHint : 0
; COMPUTE_PGM_RSRC2:SCRATCH_EN: 0
; COMPUTE_PGM_RSRC2:USER_SGPR: 15
; COMPUTE_PGM_RSRC2:TRAP_HANDLER: 0
; COMPUTE_PGM_RSRC2:TGID_X_EN: 1
; COMPUTE_PGM_RSRC2:TGID_Y_EN: 0
; COMPUTE_PGM_RSRC2:TGID_Z_EN: 0
; COMPUTE_PGM_RSRC2:TIDIG_COMP_CNT: 0
	.section	.text._ZN9rocsparseL42csr2bsr_nnz_block_per_row_multipass_kernelILj256ELj64EiiEEvT2_S1_S1_S1_S1_21rocsparse_index_base_PKT1_PKS1_S2_PS3_,"axG",@progbits,_ZN9rocsparseL42csr2bsr_nnz_block_per_row_multipass_kernelILj256ELj64EiiEEvT2_S1_S1_S1_S1_21rocsparse_index_base_PKT1_PKS1_S2_PS3_,comdat
	.globl	_ZN9rocsparseL42csr2bsr_nnz_block_per_row_multipass_kernelILj256ELj64EiiEEvT2_S1_S1_S1_S1_21rocsparse_index_base_PKT1_PKS1_S2_PS3_ ; -- Begin function _ZN9rocsparseL42csr2bsr_nnz_block_per_row_multipass_kernelILj256ELj64EiiEEvT2_S1_S1_S1_S1_21rocsparse_index_base_PKT1_PKS1_S2_PS3_
	.p2align	8
	.type	_ZN9rocsparseL42csr2bsr_nnz_block_per_row_multipass_kernelILj256ELj64EiiEEvT2_S1_S1_S1_S1_21rocsparse_index_base_PKT1_PKS1_S2_PS3_,@function
_ZN9rocsparseL42csr2bsr_nnz_block_per_row_multipass_kernelILj256ELj64EiiEEvT2_S1_S1_S1_S1_21rocsparse_index_base_PKT1_PKS1_S2_PS3_: ; @_ZN9rocsparseL42csr2bsr_nnz_block_per_row_multipass_kernelILj256ELj64EiiEEvT2_S1_S1_S1_S1_21rocsparse_index_base_PKT1_PKS1_S2_PS3_
; %bb.0:
	s_mov_b32 s16, s15
	s_clause 0x1
	s_load_b128 s[12:15], s[0:1], 0xc
	s_load_b32 s2, s[0:1], 0x0
	v_lshrrev_b32_e32 v4, 2, v0
	s_load_b64 s[4:5], s[0:1], 0x18
	v_dual_mov_b32 v3, 0 :: v_dual_mov_b32 v12, 0
	ds_store_b32 v3, v3 offset:1024
	s_waitcnt lgkmcnt(0)
	s_barrier
	buffer_gl0_inv
	v_mad_u64_u32 v[1:2], null, s16, s13, v[4:5]
	s_delay_alu instid0(VALU_DEP_1) | instskip(SKIP_1) | instid1(VALU_DEP_1)
	v_cmp_gt_i32_e32 vcc_lo, s2, v1
	v_cmp_gt_i32_e64 s2, s13, v4
	s_and_b32 s2, s2, vcc_lo
	s_delay_alu instid0(SALU_CYCLE_1)
	s_and_saveexec_b32 s3, s2
	s_cbranch_execnz .LBB8_3
; %bb.1:
	s_or_b32 exec_lo, exec_lo, s3
	s_and_saveexec_b32 s3, s2
	s_cbranch_execnz .LBB8_4
.LBB8_2:
	s_or_b32 exec_lo, exec_lo, s3
	v_cmp_eq_u32_e64 s2, 0, v0
	s_cmp_lt_i32 s12, 1
	s_cbranch_scc0 .LBB8_5
	s_branch .LBB8_33
.LBB8_3:
	v_ashrrev_i32_e32 v2, 31, v1
	s_delay_alu instid0(VALU_DEP_1) | instskip(NEXT) | instid1(VALU_DEP_1)
	v_lshlrev_b64 v[4:5], 2, v[1:2]
	v_add_co_u32 v4, vcc_lo, s4, v4
	s_delay_alu instid0(VALU_DEP_2)
	v_add_co_ci_u32_e32 v5, vcc_lo, s5, v5, vcc_lo
	global_load_b32 v2, v[4:5], off
	s_waitcnt vmcnt(0)
	v_subrev_nc_u32_e32 v12, s14, v2
	s_or_b32 exec_lo, exec_lo, s3
	s_and_saveexec_b32 s3, s2
	s_cbranch_execz .LBB8_2
.LBB8_4:
	v_ashrrev_i32_e32 v2, 31, v1
	s_delay_alu instid0(VALU_DEP_1) | instskip(NEXT) | instid1(VALU_DEP_1)
	v_lshlrev_b64 v[1:2], 2, v[1:2]
	v_add_co_u32 v1, vcc_lo, s4, v1
	s_delay_alu instid0(VALU_DEP_2)
	v_add_co_ci_u32_e32 v2, vcc_lo, s5, v2, vcc_lo
	global_load_b32 v1, v[1:2], off offset:4
	s_waitcnt vmcnt(0)
	v_subrev_nc_u32_e32 v3, s14, v1
	s_or_b32 exec_lo, exec_lo, s3
	v_cmp_eq_u32_e64 s2, 0, v0
	s_cmp_lt_i32 s12, 1
	s_cbranch_scc1 .LBB8_33
.LBB8_5:
	s_abs_i32 s11, s13
	v_mbcnt_lo_u32_b32 v2, -1, 0
	v_cvt_f32_u32_e32 v1, s11
	s_sub_i32 s7, 0, s11
	s_load_b64 s[18:19], s[0:1], 0x20
	v_lshlrev_b32_e32 v5, 2, v0
	v_xor_b32_e32 v7, 2, v2
	v_rcp_iflag_f32_e32 v1, v1
	v_xor_b32_e32 v8, 1, v2
	v_cmp_gt_u32_e64 s3, 0x80, v0
	v_cmp_gt_u32_e64 s4, 64, v0
	v_cmp_gt_i32_e32 vcc_lo, 32, v7
	v_cmp_gt_u32_e64 s5, 32, v0
	v_cmp_gt_u32_e64 s6, 16, v0
	;; [unrolled: 1-line block ×4, first 2 shown]
	v_cndmask_b32_e32 v9, v2, v7, vcc_lo
	v_dual_mul_f32 v1, 0x4f7ffffe, v1 :: v_dual_and_b32 v4, 3, v0
	v_cmp_gt_i32_e32 vcc_lo, 32, v8
	v_mov_b32_e32 v7, 1
	s_ashr_i32 s13, s13, 31
	s_delay_alu instid0(VALU_DEP_3) | instskip(SKIP_3) | instid1(VALU_DEP_4)
	v_cvt_u32_f32_e32 v1, v1
	v_mov_b32_e32 v14, 0
	v_cndmask_b32_e32 v10, v2, v8, vcc_lo
	v_lshl_or_b32 v8, v2, 2, 12
	v_mul_lo_u32 v6, s7, v1
	v_cmp_gt_u32_e64 s7, 8, v0
	s_delay_alu instid0(VALU_DEP_4) | instskip(SKIP_1) | instid1(VALU_DEP_4)
	v_lshlrev_b32_e32 v10, 2, v10
	v_lshlrev_b32_e32 v9, 2, v9
	v_mul_hi_u32 v11, v1, v6
	s_delay_alu instid0(VALU_DEP_1)
	v_dual_mov_b32 v6, 0 :: v_dual_add_nc_u32 v11, v1, v11
	s_branch .LBB8_7
.LBB8_6:                                ;   in Loop: Header=BB8_7 Depth=1
	s_or_b32 exec_lo, exec_lo, s10
	s_waitcnt lgkmcnt(0)
	s_barrier
	buffer_gl0_inv
	ds_load_b32 v14, v6
	s_waitcnt lgkmcnt(0)
	s_barrier
	buffer_gl0_inv
	v_cmp_gt_i32_e32 vcc_lo, s12, v14
	s_cbranch_vccz .LBB8_33
.LBB8_7:                                ; =>This Loop Header: Depth=1
                                        ;     Child Loop BB8_10 Depth 2
	v_dual_mov_b32 v12, v3 :: v_dual_add_nc_u32 v1, v12, v4
	v_mov_b32_e32 v13, s12
	s_mov_b32 s15, exec_lo
	ds_store_b8 v6, v6 offset:1028
	s_waitcnt lgkmcnt(0)
	s_barrier
	buffer_gl0_inv
	v_cmpx_lt_i32_e64 v1, v3
	s_cbranch_execz .LBB8_15
; %bb.8:                                ;   in Loop: Header=BB8_7 Depth=1
	v_dual_mov_b32 v13, s12 :: v_dual_mov_b32 v12, v3
	s_mov_b32 s17, 0
	s_branch .LBB8_10
.LBB8_9:                                ;   in Loop: Header=BB8_10 Depth=2
	s_or_b32 exec_lo, exec_lo, s10
	v_add_nc_u32_e32 v1, 4, v1
	s_xor_b32 s20, vcc_lo, -1
	s_delay_alu instid0(VALU_DEP_1) | instskip(NEXT) | instid1(VALU_DEP_1)
	v_cmp_ge_i32_e64 s10, v1, v3
	s_or_b32 s10, s20, s10
	s_delay_alu instid0(SALU_CYCLE_1) | instskip(NEXT) | instid1(SALU_CYCLE_1)
	s_and_b32 s10, exec_lo, s10
	s_or_b32 s17, s10, s17
	s_delay_alu instid0(SALU_CYCLE_1)
	s_and_not1_b32 exec_lo, exec_lo, s17
	s_cbranch_execz .LBB8_14
.LBB8_10:                               ;   Parent Loop BB8_7 Depth=1
                                        ; =>  This Inner Loop Header: Depth=2
	v_ashrrev_i32_e32 v2, 31, v1
	s_delay_alu instid0(VALU_DEP_1) | instskip(NEXT) | instid1(VALU_DEP_1)
	v_lshlrev_b64 v[15:16], 2, v[1:2]
	v_add_co_u32 v15, vcc_lo, s18, v15
	s_delay_alu instid0(VALU_DEP_2) | instskip(SKIP_3) | instid1(VALU_DEP_1)
	v_add_co_ci_u32_e32 v16, vcc_lo, s19, v16, vcc_lo
	global_load_b32 v2, v[15:16], off
	s_waitcnt vmcnt(0)
	v_subrev_nc_u32_e32 v2, s14, v2
	v_sub_nc_u32_e32 v15, 0, v2
	s_delay_alu instid0(VALU_DEP_1) | instskip(SKIP_1) | instid1(VALU_DEP_2)
	v_max_i32_e32 v15, v2, v15
	v_ashrrev_i32_e32 v2, 31, v2
	v_mul_hi_u32 v16, v15, v11
	s_delay_alu instid0(VALU_DEP_2) | instskip(NEXT) | instid1(VALU_DEP_2)
	v_xor_b32_e32 v2, s13, v2
	v_mul_lo_u32 v17, v16, s11
	s_delay_alu instid0(VALU_DEP_1) | instskip(SKIP_1) | instid1(VALU_DEP_2)
	v_sub_nc_u32_e32 v15, v15, v17
	v_add_nc_u32_e32 v17, 1, v16
	v_subrev_nc_u32_e32 v18, s11, v15
	v_cmp_le_u32_e32 vcc_lo, s11, v15
	s_delay_alu instid0(VALU_DEP_2) | instskip(NEXT) | instid1(VALU_DEP_1)
	v_dual_cndmask_b32 v16, v16, v17 :: v_dual_cndmask_b32 v15, v15, v18
	v_add_nc_u32_e32 v17, 1, v16
	s_delay_alu instid0(VALU_DEP_2) | instskip(NEXT) | instid1(VALU_DEP_2)
	v_cmp_le_u32_e32 vcc_lo, s11, v15
	v_cndmask_b32_e32 v15, v16, v17, vcc_lo
	s_delay_alu instid0(VALU_DEP_1) | instskip(NEXT) | instid1(VALU_DEP_1)
	v_xor_b32_e32 v15, v15, v2
	v_sub_nc_u32_e32 v15, v15, v2
	v_mov_b32_e32 v2, v12
	s_delay_alu instid0(VALU_DEP_2) | instskip(SKIP_1) | instid1(VALU_DEP_1)
	v_cmp_eq_u32_e32 vcc_lo, v15, v14
	v_cmp_ne_u32_e64 s10, v15, v14
	s_and_saveexec_b32 s20, s10
	s_delay_alu instid0(SALU_CYCLE_1)
	s_xor_b32 s10, exec_lo, s20
; %bb.11:                               ;   in Loop: Header=BB8_10 Depth=2
	v_min_i32_e32 v13, v15, v13
                                        ; implicit-def: $vgpr2
; %bb.12:                               ;   in Loop: Header=BB8_10 Depth=2
	s_or_saveexec_b32 s10, s10
	v_mov_b32_e32 v12, v1
	s_xor_b32 exec_lo, exec_lo, s10
	s_cbranch_execz .LBB8_9
; %bb.13:                               ;   in Loop: Header=BB8_10 Depth=2
	v_mov_b32_e32 v12, v2
	ds_store_b8 v6, v7 offset:1028
	s_branch .LBB8_9
.LBB8_14:                               ;   in Loop: Header=BB8_7 Depth=1
	s_or_b32 exec_lo, exec_lo, s17
.LBB8_15:                               ;   in Loop: Header=BB8_7 Depth=1
	s_delay_alu instid0(SALU_CYCLE_1)
	s_or_b32 exec_lo, exec_lo, s15
	ds_bpermute_b32 v1, v9, v12
	s_waitcnt lgkmcnt(0)
	s_barrier
	buffer_gl0_inv
	ds_load_u8 v14, v6 offset:1028
	v_min_i32_e32 v1, v1, v12
	s_waitcnt lgkmcnt(0)
	v_readfirstlane_b32 s10, v14
	ds_bpermute_b32 v2, v10, v1
	s_bitcmp1_b32 s10, 0
	s_cselect_b32 s10, -1, 0
	s_delay_alu instid0(SALU_CYCLE_1)
	s_and_b32 s15, s2, s10
	s_waitcnt lgkmcnt(0)
	v_min_i32_e32 v1, v2, v1
	ds_bpermute_b32 v12, v8, v1
	s_and_saveexec_b32 s10, s15
	s_cbranch_execz .LBB8_17
; %bb.16:                               ;   in Loop: Header=BB8_7 Depth=1
	ds_load_b32 v1, v6 offset:1024
	s_waitcnt lgkmcnt(0)
	v_add_nc_u32_e32 v1, 1, v1
	ds_store_b32 v6, v1 offset:1024
.LBB8_17:                               ;   in Loop: Header=BB8_7 Depth=1
	s_or_b32 exec_lo, exec_lo, s10
	ds_store_b32 v5, v13
	s_waitcnt lgkmcnt(0)
	s_barrier
	buffer_gl0_inv
	s_and_saveexec_b32 s10, s3
	s_cbranch_execz .LBB8_19
; %bb.18:                               ;   in Loop: Header=BB8_7 Depth=1
	ds_load_2addr_stride64_b32 v[1:2], v5 offset1:2
	s_waitcnt lgkmcnt(0)
	v_min_i32_e32 v1, v2, v1
	ds_store_b32 v5, v1
.LBB8_19:                               ;   in Loop: Header=BB8_7 Depth=1
	s_or_b32 exec_lo, exec_lo, s10
	s_waitcnt lgkmcnt(0)
	s_barrier
	buffer_gl0_inv
	s_and_saveexec_b32 s10, s4
	s_cbranch_execz .LBB8_21
; %bb.20:                               ;   in Loop: Header=BB8_7 Depth=1
	ds_load_2addr_stride64_b32 v[1:2], v5 offset1:1
	s_waitcnt lgkmcnt(0)
	v_min_i32_e32 v1, v2, v1
	ds_store_b32 v5, v1
.LBB8_21:                               ;   in Loop: Header=BB8_7 Depth=1
	s_or_b32 exec_lo, exec_lo, s10
	s_waitcnt lgkmcnt(0)
	s_barrier
	buffer_gl0_inv
	s_and_saveexec_b32 s10, s5
	s_cbranch_execz .LBB8_23
; %bb.22:                               ;   in Loop: Header=BB8_7 Depth=1
	ds_load_2addr_b32 v[1:2], v5 offset1:32
	s_waitcnt lgkmcnt(0)
	v_min_i32_e32 v1, v2, v1
	ds_store_b32 v5, v1
.LBB8_23:                               ;   in Loop: Header=BB8_7 Depth=1
	s_or_b32 exec_lo, exec_lo, s10
	s_waitcnt lgkmcnt(0)
	s_barrier
	buffer_gl0_inv
	s_and_saveexec_b32 s10, s6
	s_cbranch_execz .LBB8_25
; %bb.24:                               ;   in Loop: Header=BB8_7 Depth=1
	ds_load_2addr_b32 v[1:2], v5 offset1:16
	s_waitcnt lgkmcnt(0)
	v_min_i32_e32 v1, v2, v1
	ds_store_b32 v5, v1
.LBB8_25:                               ;   in Loop: Header=BB8_7 Depth=1
	;; [unrolled: 12-line block ×5, first 2 shown]
	s_or_b32 exec_lo, exec_lo, s10
	s_waitcnt lgkmcnt(0)
	s_barrier
	buffer_gl0_inv
	s_and_saveexec_b32 s10, s2
	s_cbranch_execz .LBB8_6
; %bb.32:                               ;   in Loop: Header=BB8_7 Depth=1
	ds_load_b64 v[1:2], v6
	s_waitcnt lgkmcnt(0)
	v_min_i32_e32 v1, v2, v1
	ds_store_b32 v6, v1
	s_branch .LBB8_6
.LBB8_33:
	s_mov_b32 s2, exec_lo
	v_cmpx_eq_u32_e32 0, v0
	s_cbranch_execz .LBB8_35
; %bb.34:
	s_load_b32 s2, s[0:1], 0x28
	v_mov_b32_e32 v0, 0
	s_load_b64 s[0:1], s[0:1], 0x30
	s_ashr_i32 s17, s16, 31
	ds_load_b32 v1, v0 offset:1024
	s_waitcnt lgkmcnt(0)
	v_mov_b32_e32 v2, s2
	s_lshl_b64 s[2:3], s[16:17], 2
	s_delay_alu instid0(SALU_CYCLE_1)
	s_add_u32 s2, s0, s2
	s_addc_u32 s3, s1, s3
	s_clause 0x1
	global_store_b32 v0, v2, s[0:1]
	global_store_b32 v0, v1, s[2:3] offset:4
.LBB8_35:
	s_nop 0
	s_sendmsg sendmsg(MSG_DEALLOC_VGPRS)
	s_endpgm
	.section	.rodata,"a",@progbits
	.p2align	6, 0x0
	.amdhsa_kernel _ZN9rocsparseL42csr2bsr_nnz_block_per_row_multipass_kernelILj256ELj64EiiEEvT2_S1_S1_S1_S1_21rocsparse_index_base_PKT1_PKS1_S2_PS3_
		.amdhsa_group_segment_fixed_size 1032
		.amdhsa_private_segment_fixed_size 0
		.amdhsa_kernarg_size 56
		.amdhsa_user_sgpr_count 15
		.amdhsa_user_sgpr_dispatch_ptr 0
		.amdhsa_user_sgpr_queue_ptr 0
		.amdhsa_user_sgpr_kernarg_segment_ptr 1
		.amdhsa_user_sgpr_dispatch_id 0
		.amdhsa_user_sgpr_private_segment_size 0
		.amdhsa_wavefront_size32 1
		.amdhsa_uses_dynamic_stack 0
		.amdhsa_enable_private_segment 0
		.amdhsa_system_sgpr_workgroup_id_x 1
		.amdhsa_system_sgpr_workgroup_id_y 0
		.amdhsa_system_sgpr_workgroup_id_z 0
		.amdhsa_system_sgpr_workgroup_info 0
		.amdhsa_system_vgpr_workitem_id 0
		.amdhsa_next_free_vgpr 19
		.amdhsa_next_free_sgpr 21
		.amdhsa_reserve_vcc 1
		.amdhsa_float_round_mode_32 0
		.amdhsa_float_round_mode_16_64 0
		.amdhsa_float_denorm_mode_32 3
		.amdhsa_float_denorm_mode_16_64 3
		.amdhsa_dx10_clamp 1
		.amdhsa_ieee_mode 1
		.amdhsa_fp16_overflow 0
		.amdhsa_workgroup_processor_mode 1
		.amdhsa_memory_ordered 1
		.amdhsa_forward_progress 0
		.amdhsa_shared_vgpr_count 0
		.amdhsa_exception_fp_ieee_invalid_op 0
		.amdhsa_exception_fp_denorm_src 0
		.amdhsa_exception_fp_ieee_div_zero 0
		.amdhsa_exception_fp_ieee_overflow 0
		.amdhsa_exception_fp_ieee_underflow 0
		.amdhsa_exception_fp_ieee_inexact 0
		.amdhsa_exception_int_div_zero 0
	.end_amdhsa_kernel
	.section	.text._ZN9rocsparseL42csr2bsr_nnz_block_per_row_multipass_kernelILj256ELj64EiiEEvT2_S1_S1_S1_S1_21rocsparse_index_base_PKT1_PKS1_S2_PS3_,"axG",@progbits,_ZN9rocsparseL42csr2bsr_nnz_block_per_row_multipass_kernelILj256ELj64EiiEEvT2_S1_S1_S1_S1_21rocsparse_index_base_PKT1_PKS1_S2_PS3_,comdat
.Lfunc_end8:
	.size	_ZN9rocsparseL42csr2bsr_nnz_block_per_row_multipass_kernelILj256ELj64EiiEEvT2_S1_S1_S1_S1_21rocsparse_index_base_PKT1_PKS1_S2_PS3_, .Lfunc_end8-_ZN9rocsparseL42csr2bsr_nnz_block_per_row_multipass_kernelILj256ELj64EiiEEvT2_S1_S1_S1_S1_21rocsparse_index_base_PKT1_PKS1_S2_PS3_
                                        ; -- End function
	.section	.AMDGPU.csdata,"",@progbits
; Kernel info:
; codeLenInByte = 1520
; NumSgprs: 23
; NumVgprs: 19
; ScratchSize: 0
; MemoryBound: 0
; FloatMode: 240
; IeeeMode: 1
; LDSByteSize: 1032 bytes/workgroup (compile time only)
; SGPRBlocks: 2
; VGPRBlocks: 2
; NumSGPRsForWavesPerEU: 23
; NumVGPRsForWavesPerEU: 19
; Occupancy: 16
; WaveLimiterHint : 0
; COMPUTE_PGM_RSRC2:SCRATCH_EN: 0
; COMPUTE_PGM_RSRC2:USER_SGPR: 15
; COMPUTE_PGM_RSRC2:TRAP_HANDLER: 0
; COMPUTE_PGM_RSRC2:TGID_X_EN: 1
; COMPUTE_PGM_RSRC2:TGID_Y_EN: 0
; COMPUTE_PGM_RSRC2:TGID_Z_EN: 0
; COMPUTE_PGM_RSRC2:TIDIG_COMP_CNT: 0
	.section	.text._ZN9rocsparseL25csr2bsr_nnz_65_inf_kernelILj32EiiEEvT1_S1_S1_S1_S1_S1_21rocsparse_index_base_PKT0_PKS1_S2_PS3_S8_,"axG",@progbits,_ZN9rocsparseL25csr2bsr_nnz_65_inf_kernelILj32EiiEEvT1_S1_S1_S1_S1_S1_21rocsparse_index_base_PKT0_PKS1_S2_PS3_S8_,comdat
	.globl	_ZN9rocsparseL25csr2bsr_nnz_65_inf_kernelILj32EiiEEvT1_S1_S1_S1_S1_S1_21rocsparse_index_base_PKT0_PKS1_S2_PS3_S8_ ; -- Begin function _ZN9rocsparseL25csr2bsr_nnz_65_inf_kernelILj32EiiEEvT1_S1_S1_S1_S1_S1_21rocsparse_index_base_PKT0_PKS1_S2_PS3_S8_
	.p2align	8
	.type	_ZN9rocsparseL25csr2bsr_nnz_65_inf_kernelILj32EiiEEvT1_S1_S1_S1_S1_S1_21rocsparse_index_base_PKT0_PKS1_S2_PS3_S8_,@function
_ZN9rocsparseL25csr2bsr_nnz_65_inf_kernelILj32EiiEEvT1_S1_S1_S1_S1_S1_21rocsparse_index_base_PKT0_PKS1_S2_PS3_S8_: ; @_ZN9rocsparseL25csr2bsr_nnz_65_inf_kernelILj32EiiEEvT1_S1_S1_S1_S1_S1_21rocsparse_index_base_PKT0_PKS1_S2_PS3_S8_
; %bb.0:
	s_clause 0x2
	s_load_b128 s[4:7], s[0:1], 0x8
	s_load_b64 s[2:3], s[0:1], 0x40
	s_load_b32 s9, s[0:1], 0x18
	s_mov_b32 s13, 0
	s_mov_b32 s8, s15
	s_waitcnt lgkmcnt(0)
	v_mul_lo_u32 v1, v0, s7
	s_mul_i32 s10, s15, s7
	s_delay_alu instid0(SALU_CYCLE_1) | instskip(NEXT) | instid1(SALU_CYCLE_1)
	s_lshl_b32 s12, s10, 6
	s_lshl_b64 s[10:11], s[12:13], 2
	s_delay_alu instid0(SALU_CYCLE_1) | instskip(NEXT) | instid1(VALU_DEP_1)
	s_add_u32 s17, s2, s10
	v_ashrrev_i32_e32 v2, 31, v1
	s_addc_u32 s18, s3, s11
	s_lshl_b32 s12, s7, 5
	s_cmp_gt_i32 s7, 0
	s_cselect_b32 s16, -1, 0
	v_lshlrev_b64 v[3:4], 2, v[1:2]
	s_cmp_lt_i32 s7, 1
	s_delay_alu instid0(VALU_DEP_1) | instskip(NEXT) | instid1(VALU_DEP_2)
	v_add_co_u32 v1, vcc_lo, s17, v3
	v_add_co_ci_u32_e32 v2, vcc_lo, s18, v4, vcc_lo
	s_cbranch_scc1 .LBB9_5
; %bb.1:
	s_clause 0x1
	s_load_b64 s[10:11], s[0:1], 0x20
	s_load_b32 s19, s[0:1], 0x0
	v_dual_mov_b32 v11, 0 :: v_dual_mov_b32 v12, v0
	v_dual_mov_b32 v6, v2 :: v_dual_mov_b32 v5, v1
	s_mul_i32 s20, s8, s6
	s_lshl_b64 s[14:15], s[12:13], 2
	s_mov_b32 s21, s7
	s_set_inst_prefetch_distance 0x1
	s_branch .LBB9_3
	.p2align	6
.LBB9_2:                                ;   in Loop: Header=BB9_3 Depth=1
	s_or_b32 exec_lo, exec_lo, s2
	v_add_co_u32 v5, vcc_lo, v5, 4
	v_add_co_ci_u32_e32 v6, vcc_lo, 0, v6, vcc_lo
	v_add_nc_u32_e32 v12, 32, v12
	s_add_i32 s21, s21, -1
	s_delay_alu instid0(SALU_CYCLE_1)
	s_cmp_eq_u32 s21, 0
	s_cbranch_scc1 .LBB9_5
.LBB9_3:                                ; =>This Inner Loop Header: Depth=1
	s_delay_alu instid0(VALU_DEP_1) | instskip(SKIP_2) | instid1(VALU_DEP_1)
	v_add_nc_u32_e32 v9, s20, v12
	v_cmp_gt_u32_e32 vcc_lo, s6, v12
	v_add_co_u32 v7, s3, v5, s14
	v_add_co_ci_u32_e64 v8, s3, s15, v6, s3
	s_waitcnt lgkmcnt(0)
	v_cmp_gt_i32_e64 s2, s19, v9
	s_clause 0x1
	global_store_b32 v[5:6], v11, off
	global_store_b32 v[7:8], v11, off
	s_and_b32 s3, vcc_lo, s2
	s_delay_alu instid0(SALU_CYCLE_1)
	s_and_saveexec_b32 s2, s3
	s_cbranch_execz .LBB9_2
; %bb.4:                                ;   in Loop: Header=BB9_3 Depth=1
	v_ashrrev_i32_e32 v10, 31, v9
	s_delay_alu instid0(VALU_DEP_1) | instskip(NEXT) | instid1(VALU_DEP_1)
	v_lshlrev_b64 v[9:10], 2, v[9:10]
	v_add_co_u32 v9, vcc_lo, s10, v9
	s_delay_alu instid0(VALU_DEP_2)
	v_add_co_ci_u32_e32 v10, vcc_lo, s11, v10, vcc_lo
	global_load_b64 v[9:10], v[9:10], off
	s_waitcnt vmcnt(0)
	v_subrev_nc_u32_e32 v9, s9, v9
	v_subrev_nc_u32_e32 v10, s9, v10
	s_clause 0x1
	global_store_b32 v[5:6], v9, off
	global_store_b32 v[7:8], v10, off
	s_branch .LBB9_2
.LBB9_5:
	s_set_inst_prefetch_distance 0x2
	s_load_b64 s[10:11], s[0:1], 0x38
	v_cmp_eq_u32_e64 s2, 31, v0
	s_cmp_lt_i32 s5, 1
	s_cbranch_scc1 .LBB9_20
; %bb.6:
	s_lshl_b64 s[12:13], s[12:13], 2
	v_mbcnt_lo_u32_b32 v6, -1, 0
	s_add_u32 s3, s17, s12
	s_addc_u32 s14, s18, s13
	s_abs_i32 s17, s6
	v_add_co_u32 v10, vcc_lo, s3, v3
	v_cvt_f32_u32_e32 v5, s17
	v_xor_b32_e32 v3, 16, v6
	v_add_co_ci_u32_e32 v11, vcc_lo, s14, v4, vcc_lo
	v_xor_b32_e32 v4, 8, v6
	s_delay_alu instid0(VALU_DEP_4) | instskip(NEXT) | instid1(VALU_DEP_3)
	v_rcp_iflag_f32_e32 v5, v5
	v_cmp_gt_i32_e32 vcc_lo, 32, v3
	v_mov_b32_e32 v12, 0
	v_mov_b32_e32 v8, 0x7c
	v_xor_b32_e32 v7, 4, v6
	v_xor_b32_e32 v9, 2, v6
	v_cndmask_b32_e32 v3, v6, v3, vcc_lo
	v_cmp_gt_i32_e32 vcc_lo, 32, v4
	s_sub_i32 s3, 0, s17
	s_load_b64 s[12:13], s[0:1], 0x28
	v_mul_f32_e32 v5, 0x4f7ffffe, v5
	v_xor_b32_e32 v13, 1, v6
	v_cndmask_b32_e32 v4, v6, v4, vcc_lo
	v_cmp_gt_i32_e32 vcc_lo, 32, v7
	s_mov_b32 s15, 0
	v_cvt_u32_f32_e32 v5, v5
	s_ashr_i32 s18, s6, 31
	s_mov_b32 s6, 0
	v_cndmask_b32_e32 v7, v6, v7, vcc_lo
	v_cmp_gt_i32_e32 vcc_lo, 32, v9
	v_mul_lo_u32 v14, s3, v5
	s_delay_alu instid0(VALU_DEP_1)
	v_mul_hi_u32 v18, v5, v14
	v_cndmask_b32_e32 v9, v6, v9, vcc_lo
	v_cmp_gt_i32_e32 vcc_lo, 32, v13
	v_dual_cndmask_b32 v6, v6, v13 :: v_dual_lshlrev_b32 v13, 2, v3
	v_lshlrev_b32_e32 v14, 2, v4
	v_lshlrev_b32_e32 v15, 2, v7
	v_add_nc_u32_e32 v18, v5, v18
	v_dual_mov_b32 v9, 0 :: v_dual_lshlrev_b32 v16, 2, v9
	v_lshlrev_b32_e32 v17, 2, v6
	s_branch .LBB9_8
.LBB9_7:                                ;   in Loop: Header=BB9_8 Depth=1
	ds_bpermute_b32 v3, v13, v19
	s_waitcnt lgkmcnt(0)
	v_min_i32_e32 v3, v3, v19
	ds_bpermute_b32 v4, v14, v3
	s_waitcnt lgkmcnt(0)
	v_min_i32_e32 v3, v4, v3
	;; [unrolled: 3-line block ×5, first 2 shown]
	ds_bpermute_b32 v3, v8, v3
	s_waitcnt lgkmcnt(0)
	v_cmp_gt_i32_e32 vcc_lo, s5, v3
	v_add_nc_u32_e32 v12, 1, v3
	s_and_b32 s3, s2, vcc_lo
	s_delay_alu instid0(VALU_DEP_1) | instskip(SKIP_2) | instid1(VALU_DEP_1)
	v_cmp_le_i32_e32 vcc_lo, s5, v12
	v_cndmask_b32_e64 v3, 0, 1, s3
	s_or_b32 s6, vcc_lo, s6
	v_add_nc_u32_e32 v9, v9, v3
	s_and_not1_b32 exec_lo, exec_lo, s6
	s_cbranch_execz .LBB9_19
.LBB9_8:                                ; =>This Loop Header: Depth=1
                                        ;     Child Loop BB9_12 Depth 2
                                        ;       Child Loop BB9_15 Depth 3
	v_mov_b32_e32 v19, s5
	s_and_not1_b32 vcc_lo, exec_lo, s16
	s_cbranch_vccnz .LBB9_7
; %bb.9:                                ;   in Loop: Header=BB9_8 Depth=1
	v_mov_b32_e32 v19, s5
	s_mov_b32 s14, 0
	s_branch .LBB9_12
.LBB9_10:                               ;   in Loop: Header=BB9_12 Depth=2
	s_or_b32 exec_lo, exec_lo, s3
.LBB9_11:                               ;   in Loop: Header=BB9_12 Depth=2
	s_delay_alu instid0(SALU_CYCLE_1) | instskip(SKIP_1) | instid1(SALU_CYCLE_1)
	s_or_b32 exec_lo, exec_lo, s19
	s_add_i32 s14, s14, 1
	s_cmp_eq_u32 s14, s7
	s_cbranch_scc1 .LBB9_7
.LBB9_12:                               ;   Parent Loop BB9_8 Depth=1
                                        ; =>  This Loop Header: Depth=2
                                        ;       Child Loop BB9_15 Depth 3
	s_lshl_b64 s[20:21], s[14:15], 2
	s_mov_b32 s19, exec_lo
	v_add_co_u32 v3, vcc_lo, v1, s20
	v_add_co_ci_u32_e32 v4, vcc_lo, s21, v2, vcc_lo
	v_add_co_u32 v6, vcc_lo, v10, s20
	v_add_co_ci_u32_e32 v7, vcc_lo, s21, v11, vcc_lo
	s_clause 0x1
	global_load_b32 v5, v[3:4], off
	global_load_b32 v20, v[6:7], off
	s_waitcnt vmcnt(0)
	v_cmpx_lt_i32_e64 v5, v20
	s_cbranch_execz .LBB9_11
; %bb.13:                               ;   in Loop: Header=BB9_12 Depth=2
	v_ashrrev_i32_e32 v6, 31, v5
	s_mov_b32 s20, 0
                                        ; implicit-def: $sgpr21
                                        ; implicit-def: $sgpr23
                                        ; implicit-def: $sgpr22
	s_delay_alu instid0(VALU_DEP_1) | instskip(SKIP_1) | instid1(VALU_DEP_1)
	v_lshlrev_b64 v[6:7], 2, v[5:6]
	s_waitcnt lgkmcnt(0)
	v_add_co_u32 v6, vcc_lo, s12, v6
	s_delay_alu instid0(VALU_DEP_2)
	v_add_co_ci_u32_e32 v7, vcc_lo, s13, v7, vcc_lo
	s_set_inst_prefetch_distance 0x1
	s_branch .LBB9_15
	.p2align	6
.LBB9_14:                               ;   in Loop: Header=BB9_15 Depth=3
	s_or_b32 exec_lo, exec_lo, s24
	s_delay_alu instid0(SALU_CYCLE_1) | instskip(NEXT) | instid1(SALU_CYCLE_1)
	s_and_b32 s3, exec_lo, s23
	s_or_b32 s20, s3, s20
	s_and_not1_b32 s3, s21, exec_lo
	s_and_b32 s21, s22, exec_lo
	s_delay_alu instid0(SALU_CYCLE_1)
	s_or_b32 s21, s3, s21
	s_and_not1_b32 exec_lo, exec_lo, s20
	s_cbranch_execz .LBB9_17
.LBB9_15:                               ;   Parent Loop BB9_8 Depth=1
                                        ;     Parent Loop BB9_12 Depth=2
                                        ; =>    This Inner Loop Header: Depth=3
	global_load_b32 v21, v[6:7], off
	s_or_b32 s22, s22, exec_lo
	s_or_b32 s23, s23, exec_lo
	s_mov_b32 s24, exec_lo
	s_waitcnt vmcnt(0)
	v_subrev_nc_u32_e32 v21, s9, v21
	s_delay_alu instid0(VALU_DEP_1) | instskip(NEXT) | instid1(VALU_DEP_1)
	v_sub_nc_u32_e32 v22, 0, v21
	v_max_i32_e32 v22, v21, v22
	v_ashrrev_i32_e32 v21, 31, v21
	s_delay_alu instid0(VALU_DEP_2) | instskip(NEXT) | instid1(VALU_DEP_2)
	v_mul_hi_u32 v23, v22, v18
	v_xor_b32_e32 v21, s18, v21
	s_delay_alu instid0(VALU_DEP_2) | instskip(NEXT) | instid1(VALU_DEP_1)
	v_mul_lo_u32 v24, v23, s17
	v_sub_nc_u32_e32 v22, v22, v24
	v_add_nc_u32_e32 v24, 1, v23
	s_delay_alu instid0(VALU_DEP_2) | instskip(SKIP_1) | instid1(VALU_DEP_2)
	v_subrev_nc_u32_e32 v25, s17, v22
	v_cmp_le_u32_e32 vcc_lo, s17, v22
	v_dual_cndmask_b32 v23, v23, v24 :: v_dual_cndmask_b32 v22, v22, v25
	s_delay_alu instid0(VALU_DEP_1) | instskip(NEXT) | instid1(VALU_DEP_2)
	v_add_nc_u32_e32 v24, 1, v23
	v_cmp_le_u32_e32 vcc_lo, s17, v22
	s_delay_alu instid0(VALU_DEP_2) | instskip(NEXT) | instid1(VALU_DEP_1)
	v_cndmask_b32_e32 v22, v23, v24, vcc_lo
	v_xor_b32_e32 v22, v22, v21
	s_delay_alu instid0(VALU_DEP_1) | instskip(SKIP_1) | instid1(VALU_DEP_2)
	v_sub_nc_u32_e32 v22, v22, v21
	v_mov_b32_e32 v21, v5
                                        ; implicit-def: $vgpr5
	v_cmpx_lt_i32_e64 v22, v12
	s_cbranch_execz .LBB9_14
; %bb.16:                               ;   in Loop: Header=BB9_15 Depth=3
	s_delay_alu instid0(VALU_DEP_2) | instskip(SKIP_1) | instid1(VALU_DEP_1)
	v_add_nc_u32_e32 v5, 1, v21
	v_add_co_u32 v6, s3, v6, 4
	v_add_co_ci_u32_e64 v7, s3, 0, v7, s3
	s_delay_alu instid0(VALU_DEP_3) | instskip(SKIP_3) | instid1(SALU_CYCLE_1)
	v_cmp_ge_i32_e32 vcc_lo, v5, v20
	s_and_not1_b32 s3, s23, exec_lo
	s_and_not1_b32 s22, s22, exec_lo
	s_and_b32 s23, vcc_lo, exec_lo
	s_or_b32 s23, s3, s23
	s_branch .LBB9_14
.LBB9_17:                               ;   in Loop: Header=BB9_12 Depth=2
	s_set_inst_prefetch_distance 0x2
	s_or_b32 exec_lo, exec_lo, s20
	s_and_saveexec_b32 s3, s21
	s_delay_alu instid0(SALU_CYCLE_1)
	s_xor_b32 s3, exec_lo, s3
	s_cbranch_execz .LBB9_10
; %bb.18:                               ;   in Loop: Header=BB9_12 Depth=2
	v_min_i32_e32 v19, v22, v19
	global_store_b32 v[3:4], v21, off
	s_branch .LBB9_10
.LBB9_19:
	s_or_b32 exec_lo, exec_lo, s6
	s_branch .LBB9_21
.LBB9_20:
	v_mov_b32_e32 v9, 0
.LBB9_21:
	v_cmp_eq_u32_e32 vcc_lo, 31, v0
	s_cmp_lt_i32 s8, s4
	s_cselect_b32 s2, -1, 0
	s_delay_alu instid0(SALU_CYCLE_1) | instskip(NEXT) | instid1(SALU_CYCLE_1)
	s_and_b32 s2, vcc_lo, s2
	s_and_saveexec_b32 s3, s2
	s_cbranch_execz .LBB9_23
; %bb.22:
	s_load_b32 s0, s[0:1], 0x30
	s_ashr_i32 s9, s8, 31
	s_waitcnt lgkmcnt(0)
	v_dual_mov_b32 v0, 0 :: v_dual_mov_b32 v1, s0
	s_lshl_b64 s[0:1], s[8:9], 2
	s_delay_alu instid0(SALU_CYCLE_1)
	s_add_u32 s0, s10, s0
	s_addc_u32 s1, s11, s1
	s_clause 0x1
	global_store_b32 v0, v1, s[10:11]
	global_store_b32 v0, v9, s[0:1] offset:4
.LBB9_23:
	s_nop 0
	s_sendmsg sendmsg(MSG_DEALLOC_VGPRS)
	s_endpgm
	.section	.rodata,"a",@progbits
	.p2align	6, 0x0
	.amdhsa_kernel _ZN9rocsparseL25csr2bsr_nnz_65_inf_kernelILj32EiiEEvT1_S1_S1_S1_S1_S1_21rocsparse_index_base_PKT0_PKS1_S2_PS3_S8_
		.amdhsa_group_segment_fixed_size 0
		.amdhsa_private_segment_fixed_size 0
		.amdhsa_kernarg_size 72
		.amdhsa_user_sgpr_count 15
		.amdhsa_user_sgpr_dispatch_ptr 0
		.amdhsa_user_sgpr_queue_ptr 0
		.amdhsa_user_sgpr_kernarg_segment_ptr 1
		.amdhsa_user_sgpr_dispatch_id 0
		.amdhsa_user_sgpr_private_segment_size 0
		.amdhsa_wavefront_size32 1
		.amdhsa_uses_dynamic_stack 0
		.amdhsa_enable_private_segment 0
		.amdhsa_system_sgpr_workgroup_id_x 1
		.amdhsa_system_sgpr_workgroup_id_y 0
		.amdhsa_system_sgpr_workgroup_id_z 0
		.amdhsa_system_sgpr_workgroup_info 0
		.amdhsa_system_vgpr_workitem_id 0
		.amdhsa_next_free_vgpr 26
		.amdhsa_next_free_sgpr 25
		.amdhsa_reserve_vcc 1
		.amdhsa_float_round_mode_32 0
		.amdhsa_float_round_mode_16_64 0
		.amdhsa_float_denorm_mode_32 3
		.amdhsa_float_denorm_mode_16_64 3
		.amdhsa_dx10_clamp 1
		.amdhsa_ieee_mode 1
		.amdhsa_fp16_overflow 0
		.amdhsa_workgroup_processor_mode 1
		.amdhsa_memory_ordered 1
		.amdhsa_forward_progress 0
		.amdhsa_shared_vgpr_count 0
		.amdhsa_exception_fp_ieee_invalid_op 0
		.amdhsa_exception_fp_denorm_src 0
		.amdhsa_exception_fp_ieee_div_zero 0
		.amdhsa_exception_fp_ieee_overflow 0
		.amdhsa_exception_fp_ieee_underflow 0
		.amdhsa_exception_fp_ieee_inexact 0
		.amdhsa_exception_int_div_zero 0
	.end_amdhsa_kernel
	.section	.text._ZN9rocsparseL25csr2bsr_nnz_65_inf_kernelILj32EiiEEvT1_S1_S1_S1_S1_S1_21rocsparse_index_base_PKT0_PKS1_S2_PS3_S8_,"axG",@progbits,_ZN9rocsparseL25csr2bsr_nnz_65_inf_kernelILj32EiiEEvT1_S1_S1_S1_S1_S1_21rocsparse_index_base_PKT0_PKS1_S2_PS3_S8_,comdat
.Lfunc_end9:
	.size	_ZN9rocsparseL25csr2bsr_nnz_65_inf_kernelILj32EiiEEvT1_S1_S1_S1_S1_S1_21rocsparse_index_base_PKT0_PKS1_S2_PS3_S8_, .Lfunc_end9-_ZN9rocsparseL25csr2bsr_nnz_65_inf_kernelILj32EiiEEvT1_S1_S1_S1_S1_S1_21rocsparse_index_base_PKT0_PKS1_S2_PS3_S8_
                                        ; -- End function
	.section	.AMDGPU.csdata,"",@progbits
; Kernel info:
; codeLenInByte = 1296
; NumSgprs: 27
; NumVgprs: 26
; ScratchSize: 0
; MemoryBound: 0
; FloatMode: 240
; IeeeMode: 1
; LDSByteSize: 0 bytes/workgroup (compile time only)
; SGPRBlocks: 3
; VGPRBlocks: 3
; NumSGPRsForWavesPerEU: 27
; NumVGPRsForWavesPerEU: 26
; Occupancy: 16
; WaveLimiterHint : 0
; COMPUTE_PGM_RSRC2:SCRATCH_EN: 0
; COMPUTE_PGM_RSRC2:USER_SGPR: 15
; COMPUTE_PGM_RSRC2:TRAP_HANDLER: 0
; COMPUTE_PGM_RSRC2:TGID_X_EN: 1
; COMPUTE_PGM_RSRC2:TGID_Y_EN: 0
; COMPUTE_PGM_RSRC2:TGID_Z_EN: 0
; COMPUTE_PGM_RSRC2:TIDIG_COMP_CNT: 0
	.section	.text._ZN9rocsparseL36csr2bsr_nnz_compute_nnz_total_kernelILj1EiiEEvT1_PKT0_PS2_,"axG",@progbits,_ZN9rocsparseL36csr2bsr_nnz_compute_nnz_total_kernelILj1EiiEEvT1_PKT0_PS2_,comdat
	.globl	_ZN9rocsparseL36csr2bsr_nnz_compute_nnz_total_kernelILj1EiiEEvT1_PKT0_PS2_ ; -- Begin function _ZN9rocsparseL36csr2bsr_nnz_compute_nnz_total_kernelILj1EiiEEvT1_PKT0_PS2_
	.p2align	8
	.type	_ZN9rocsparseL36csr2bsr_nnz_compute_nnz_total_kernelILj1EiiEEvT1_PKT0_PS2_,@function
_ZN9rocsparseL36csr2bsr_nnz_compute_nnz_total_kernelILj1EiiEEvT1_PKT0_PS2_: ; @_ZN9rocsparseL36csr2bsr_nnz_compute_nnz_total_kernelILj1EiiEEvT1_PKT0_PS2_
; %bb.0:
	s_sub_i32 s2, 0, s15
	s_delay_alu instid0(SALU_CYCLE_1)
	s_cmp_lg_u32 s2, 0
	s_cbranch_scc1 .LBB10_2
; %bb.1:
	s_clause 0x1
	s_load_b32 s4, s[0:1], 0x0
	s_load_b128 s[0:3], s[0:1], 0x8
	s_waitcnt lgkmcnt(0)
	s_ashr_i32 s5, s4, 31
	s_delay_alu instid0(SALU_CYCLE_1) | instskip(NEXT) | instid1(SALU_CYCLE_1)
	s_lshl_b64 s[4:5], s[4:5], 2
	s_add_u32 s4, s0, s4
	s_addc_u32 s5, s1, s5
	s_clause 0x1
	s_load_b32 s4, s[4:5], 0x0
	s_load_b32 s0, s[0:1], 0x0
	s_waitcnt lgkmcnt(0)
	s_sub_i32 s0, s4, s0
	s_delay_alu instid0(SALU_CYCLE_1)
	v_dual_mov_b32 v0, 0 :: v_dual_mov_b32 v1, s0
	global_store_b32 v0, v1, s[2:3]
.LBB10_2:
	s_nop 0
	s_sendmsg sendmsg(MSG_DEALLOC_VGPRS)
	s_endpgm
	.section	.rodata,"a",@progbits
	.p2align	6, 0x0
	.amdhsa_kernel _ZN9rocsparseL36csr2bsr_nnz_compute_nnz_total_kernelILj1EiiEEvT1_PKT0_PS2_
		.amdhsa_group_segment_fixed_size 0
		.amdhsa_private_segment_fixed_size 0
		.amdhsa_kernarg_size 24
		.amdhsa_user_sgpr_count 15
		.amdhsa_user_sgpr_dispatch_ptr 0
		.amdhsa_user_sgpr_queue_ptr 0
		.amdhsa_user_sgpr_kernarg_segment_ptr 1
		.amdhsa_user_sgpr_dispatch_id 0
		.amdhsa_user_sgpr_private_segment_size 0
		.amdhsa_wavefront_size32 1
		.amdhsa_uses_dynamic_stack 0
		.amdhsa_enable_private_segment 0
		.amdhsa_system_sgpr_workgroup_id_x 1
		.amdhsa_system_sgpr_workgroup_id_y 0
		.amdhsa_system_sgpr_workgroup_id_z 0
		.amdhsa_system_sgpr_workgroup_info 0
		.amdhsa_system_vgpr_workitem_id 0
		.amdhsa_next_free_vgpr 2
		.amdhsa_next_free_sgpr 16
		.amdhsa_reserve_vcc 0
		.amdhsa_float_round_mode_32 0
		.amdhsa_float_round_mode_16_64 0
		.amdhsa_float_denorm_mode_32 3
		.amdhsa_float_denorm_mode_16_64 3
		.amdhsa_dx10_clamp 1
		.amdhsa_ieee_mode 1
		.amdhsa_fp16_overflow 0
		.amdhsa_workgroup_processor_mode 1
		.amdhsa_memory_ordered 1
		.amdhsa_forward_progress 0
		.amdhsa_shared_vgpr_count 0
		.amdhsa_exception_fp_ieee_invalid_op 0
		.amdhsa_exception_fp_denorm_src 0
		.amdhsa_exception_fp_ieee_div_zero 0
		.amdhsa_exception_fp_ieee_overflow 0
		.amdhsa_exception_fp_ieee_underflow 0
		.amdhsa_exception_fp_ieee_inexact 0
		.amdhsa_exception_int_div_zero 0
	.end_amdhsa_kernel
	.section	.text._ZN9rocsparseL36csr2bsr_nnz_compute_nnz_total_kernelILj1EiiEEvT1_PKT0_PS2_,"axG",@progbits,_ZN9rocsparseL36csr2bsr_nnz_compute_nnz_total_kernelILj1EiiEEvT1_PKT0_PS2_,comdat
.Lfunc_end10:
	.size	_ZN9rocsparseL36csr2bsr_nnz_compute_nnz_total_kernelILj1EiiEEvT1_PKT0_PS2_, .Lfunc_end10-_ZN9rocsparseL36csr2bsr_nnz_compute_nnz_total_kernelILj1EiiEEvT1_PKT0_PS2_
                                        ; -- End function
	.section	.AMDGPU.csdata,"",@progbits
; Kernel info:
; codeLenInByte = 120
; NumSgprs: 16
; NumVgprs: 2
; ScratchSize: 0
; MemoryBound: 0
; FloatMode: 240
; IeeeMode: 1
; LDSByteSize: 0 bytes/workgroup (compile time only)
; SGPRBlocks: 1
; VGPRBlocks: 0
; NumSGPRsForWavesPerEU: 16
; NumVGPRsForWavesPerEU: 2
; Occupancy: 16
; WaveLimiterHint : 0
; COMPUTE_PGM_RSRC2:SCRATCH_EN: 0
; COMPUTE_PGM_RSRC2:USER_SGPR: 15
; COMPUTE_PGM_RSRC2:TRAP_HANDLER: 0
; COMPUTE_PGM_RSRC2:TGID_X_EN: 1
; COMPUTE_PGM_RSRC2:TGID_Y_EN: 0
; COMPUTE_PGM_RSRC2:TGID_Z_EN: 0
; COMPUTE_PGM_RSRC2:TIDIG_COMP_CNT: 0
	.section	.text._ZN9rocsparseL39csr2bsr_nnz_block_dim_equals_one_kernelILj256EliEEvT1_21rocsparse_index_base_PKT0_S2_PS3_S6_,"axG",@progbits,_ZN9rocsparseL39csr2bsr_nnz_block_dim_equals_one_kernelILj256EliEEvT1_21rocsparse_index_base_PKT0_S2_PS3_S6_,comdat
	.globl	_ZN9rocsparseL39csr2bsr_nnz_block_dim_equals_one_kernelILj256EliEEvT1_21rocsparse_index_base_PKT0_S2_PS3_S6_ ; -- Begin function _ZN9rocsparseL39csr2bsr_nnz_block_dim_equals_one_kernelILj256EliEEvT1_21rocsparse_index_base_PKT0_S2_PS3_S6_
	.p2align	8
	.type	_ZN9rocsparseL39csr2bsr_nnz_block_dim_equals_one_kernelILj256EliEEvT1_21rocsparse_index_base_PKT0_S2_PS3_S6_,@function
_ZN9rocsparseL39csr2bsr_nnz_block_dim_equals_one_kernelILj256EliEEvT1_21rocsparse_index_base_PKT0_S2_PS3_S6_: ; @_ZN9rocsparseL39csr2bsr_nnz_block_dim_equals_one_kernelILj256EliEEvT1_21rocsparse_index_base_PKT0_S2_PS3_S6_
; %bb.0:
	s_clause 0x1
	s_load_b32 s2, s[0:1], 0x34
	s_load_b128 s[4:7], s[0:1], 0x0
	s_waitcnt lgkmcnt(0)
	s_and_b32 s2, s2, 0xffff
	s_delay_alu instid0(SALU_CYCLE_1) | instskip(SKIP_1) | instid1(VALU_DEP_1)
	v_mad_u64_u32 v[1:2], null, s15, s2, v[0:1]
	s_mov_b32 s2, exec_lo
	v_cmpx_ge_i32_e64 s4, v1
	s_cbranch_execz .LBB11_2
; %bb.1:
	v_ashrrev_i32_e32 v2, 31, v1
	s_delay_alu instid0(VALU_DEP_1) | instskip(NEXT) | instid1(VALU_DEP_1)
	v_lshlrev_b64 v[2:3], 3, v[1:2]
	v_add_co_u32 v4, vcc_lo, s6, v2
	s_delay_alu instid0(VALU_DEP_2)
	v_add_co_ci_u32_e32 v5, vcc_lo, s7, v3, vcc_lo
	global_load_b64 v[4:5], v[4:5], off
	s_clause 0x1
	s_load_b64 s[8:9], s[0:1], 0x18
	s_load_b32 s3, s[0:1], 0x10
	s_waitcnt lgkmcnt(0)
	v_add_co_u32 v2, vcc_lo, s8, v2
	s_sub_u32 s3, s3, s5
	v_add_co_ci_u32_e32 v3, vcc_lo, s9, v3, vcc_lo
	s_subb_u32 s5, 0, 0
	s_waitcnt vmcnt(0)
	v_add_co_u32 v4, vcc_lo, s3, v4
	v_add_co_ci_u32_e32 v5, vcc_lo, s5, v5, vcc_lo
	global_store_b64 v[2:3], v[4:5], off
.LBB11_2:
	s_or_b32 exec_lo, exec_lo, s2
	s_delay_alu instid0(SALU_CYCLE_1)
	s_mov_b32 s2, exec_lo
	v_cmpx_eq_u32_e32 0, v1
	s_cbranch_execz .LBB11_4
; %bb.3:
	s_ashr_i32 s5, s4, 31
	s_delay_alu instid0(SALU_CYCLE_1) | instskip(NEXT) | instid1(SALU_CYCLE_1)
	s_lshl_b64 s[2:3], s[4:5], 3
	s_add_u32 s2, s6, s2
	s_addc_u32 s3, s7, s3
	s_clause 0x1
	s_load_b64 s[2:3], s[2:3], 0x0
	s_load_b64 s[4:5], s[6:7], 0x0
	;; [unrolled: 1-line block ×3, first 2 shown]
	s_waitcnt lgkmcnt(0)
	s_sub_u32 s2, s2, s4
	s_subb_u32 s3, s3, s5
	v_mov_b32_e32 v0, s2
	v_dual_mov_b32 v2, 0 :: v_dual_mov_b32 v1, s3
	global_store_b64 v2, v[0:1], s[0:1]
.LBB11_4:
	s_nop 0
	s_sendmsg sendmsg(MSG_DEALLOC_VGPRS)
	s_endpgm
	.section	.rodata,"a",@progbits
	.p2align	6, 0x0
	.amdhsa_kernel _ZN9rocsparseL39csr2bsr_nnz_block_dim_equals_one_kernelILj256EliEEvT1_21rocsparse_index_base_PKT0_S2_PS3_S6_
		.amdhsa_group_segment_fixed_size 0
		.amdhsa_private_segment_fixed_size 0
		.amdhsa_kernarg_size 296
		.amdhsa_user_sgpr_count 15
		.amdhsa_user_sgpr_dispatch_ptr 0
		.amdhsa_user_sgpr_queue_ptr 0
		.amdhsa_user_sgpr_kernarg_segment_ptr 1
		.amdhsa_user_sgpr_dispatch_id 0
		.amdhsa_user_sgpr_private_segment_size 0
		.amdhsa_wavefront_size32 1
		.amdhsa_uses_dynamic_stack 0
		.amdhsa_enable_private_segment 0
		.amdhsa_system_sgpr_workgroup_id_x 1
		.amdhsa_system_sgpr_workgroup_id_y 0
		.amdhsa_system_sgpr_workgroup_id_z 0
		.amdhsa_system_sgpr_workgroup_info 0
		.amdhsa_system_vgpr_workitem_id 0
		.amdhsa_next_free_vgpr 6
		.amdhsa_next_free_sgpr 16
		.amdhsa_reserve_vcc 1
		.amdhsa_float_round_mode_32 0
		.amdhsa_float_round_mode_16_64 0
		.amdhsa_float_denorm_mode_32 3
		.amdhsa_float_denorm_mode_16_64 3
		.amdhsa_dx10_clamp 1
		.amdhsa_ieee_mode 1
		.amdhsa_fp16_overflow 0
		.amdhsa_workgroup_processor_mode 1
		.amdhsa_memory_ordered 1
		.amdhsa_forward_progress 0
		.amdhsa_shared_vgpr_count 0
		.amdhsa_exception_fp_ieee_invalid_op 0
		.amdhsa_exception_fp_denorm_src 0
		.amdhsa_exception_fp_ieee_div_zero 0
		.amdhsa_exception_fp_ieee_overflow 0
		.amdhsa_exception_fp_ieee_underflow 0
		.amdhsa_exception_fp_ieee_inexact 0
		.amdhsa_exception_int_div_zero 0
	.end_amdhsa_kernel
	.section	.text._ZN9rocsparseL39csr2bsr_nnz_block_dim_equals_one_kernelILj256EliEEvT1_21rocsparse_index_base_PKT0_S2_PS3_S6_,"axG",@progbits,_ZN9rocsparseL39csr2bsr_nnz_block_dim_equals_one_kernelILj256EliEEvT1_21rocsparse_index_base_PKT0_S2_PS3_S6_,comdat
.Lfunc_end11:
	.size	_ZN9rocsparseL39csr2bsr_nnz_block_dim_equals_one_kernelILj256EliEEvT1_21rocsparse_index_base_PKT0_S2_PS3_S6_, .Lfunc_end11-_ZN9rocsparseL39csr2bsr_nnz_block_dim_equals_one_kernelILj256EliEEvT1_21rocsparse_index_base_PKT0_S2_PS3_S6_
                                        ; -- End function
	.section	.AMDGPU.csdata,"",@progbits
; Kernel info:
; codeLenInByte = 280
; NumSgprs: 18
; NumVgprs: 6
; ScratchSize: 0
; MemoryBound: 1
; FloatMode: 240
; IeeeMode: 1
; LDSByteSize: 0 bytes/workgroup (compile time only)
; SGPRBlocks: 2
; VGPRBlocks: 0
; NumSGPRsForWavesPerEU: 18
; NumVGPRsForWavesPerEU: 6
; Occupancy: 16
; WaveLimiterHint : 0
; COMPUTE_PGM_RSRC2:SCRATCH_EN: 0
; COMPUTE_PGM_RSRC2:USER_SGPR: 15
; COMPUTE_PGM_RSRC2:TRAP_HANDLER: 0
; COMPUTE_PGM_RSRC2:TGID_X_EN: 1
; COMPUTE_PGM_RSRC2:TGID_Y_EN: 0
; COMPUTE_PGM_RSRC2:TGID_Z_EN: 0
; COMPUTE_PGM_RSRC2:TIDIG_COMP_CNT: 0
	.section	.text._ZN9rocsparseL39csr2bsr_nnz_block_dim_equals_one_kernelILj256EliEEvT1_21rocsparse_index_base_PKT0_S2_PS3_,"axG",@progbits,_ZN9rocsparseL39csr2bsr_nnz_block_dim_equals_one_kernelILj256EliEEvT1_21rocsparse_index_base_PKT0_S2_PS3_,comdat
	.globl	_ZN9rocsparseL39csr2bsr_nnz_block_dim_equals_one_kernelILj256EliEEvT1_21rocsparse_index_base_PKT0_S2_PS3_ ; -- Begin function _ZN9rocsparseL39csr2bsr_nnz_block_dim_equals_one_kernelILj256EliEEvT1_21rocsparse_index_base_PKT0_S2_PS3_
	.p2align	8
	.type	_ZN9rocsparseL39csr2bsr_nnz_block_dim_equals_one_kernelILj256EliEEvT1_21rocsparse_index_base_PKT0_S2_PS3_,@function
_ZN9rocsparseL39csr2bsr_nnz_block_dim_equals_one_kernelILj256EliEEvT1_21rocsparse_index_base_PKT0_S2_PS3_: ; @_ZN9rocsparseL39csr2bsr_nnz_block_dim_equals_one_kernelILj256EliEEvT1_21rocsparse_index_base_PKT0_S2_PS3_
; %bb.0:
	s_load_b64 s[2:3], s[0:1], 0x0
	v_lshl_or_b32 v0, s15, 8, v0
	s_waitcnt lgkmcnt(0)
	s_delay_alu instid0(VALU_DEP_1)
	v_cmp_ge_i32_e32 vcc_lo, s2, v0
	s_and_saveexec_b32 s2, vcc_lo
	s_cbranch_execz .LBB12_2
; %bb.1:
	s_clause 0x1
	s_load_b64 s[4:5], s[0:1], 0x8
	s_load_b32 s2, s[0:1], 0x10
	v_ashrrev_i32_e32 v1, 31, v0
	s_load_b64 s[0:1], s[0:1], 0x18
	s_delay_alu instid0(VALU_DEP_1) | instskip(SKIP_1) | instid1(VALU_DEP_1)
	v_lshlrev_b64 v[0:1], 3, v[0:1]
	s_waitcnt lgkmcnt(0)
	v_add_co_u32 v2, vcc_lo, s4, v0
	s_delay_alu instid0(VALU_DEP_2)
	v_add_co_ci_u32_e32 v3, vcc_lo, s5, v1, vcc_lo
	v_add_co_u32 v0, vcc_lo, s0, v0
	s_sub_u32 s0, s2, s3
	global_load_b64 v[2:3], v[2:3], off
	v_add_co_ci_u32_e32 v1, vcc_lo, s1, v1, vcc_lo
	s_subb_u32 s1, 0, 0
	s_waitcnt vmcnt(0)
	v_add_co_u32 v2, vcc_lo, s0, v2
	v_add_co_ci_u32_e32 v3, vcc_lo, s1, v3, vcc_lo
	global_store_b64 v[0:1], v[2:3], off
.LBB12_2:
	s_nop 0
	s_sendmsg sendmsg(MSG_DEALLOC_VGPRS)
	s_endpgm
	.section	.rodata,"a",@progbits
	.p2align	6, 0x0
	.amdhsa_kernel _ZN9rocsparseL39csr2bsr_nnz_block_dim_equals_one_kernelILj256EliEEvT1_21rocsparse_index_base_PKT0_S2_PS3_
		.amdhsa_group_segment_fixed_size 0
		.amdhsa_private_segment_fixed_size 0
		.amdhsa_kernarg_size 32
		.amdhsa_user_sgpr_count 15
		.amdhsa_user_sgpr_dispatch_ptr 0
		.amdhsa_user_sgpr_queue_ptr 0
		.amdhsa_user_sgpr_kernarg_segment_ptr 1
		.amdhsa_user_sgpr_dispatch_id 0
		.amdhsa_user_sgpr_private_segment_size 0
		.amdhsa_wavefront_size32 1
		.amdhsa_uses_dynamic_stack 0
		.amdhsa_enable_private_segment 0
		.amdhsa_system_sgpr_workgroup_id_x 1
		.amdhsa_system_sgpr_workgroup_id_y 0
		.amdhsa_system_sgpr_workgroup_id_z 0
		.amdhsa_system_sgpr_workgroup_info 0
		.amdhsa_system_vgpr_workitem_id 0
		.amdhsa_next_free_vgpr 4
		.amdhsa_next_free_sgpr 16
		.amdhsa_reserve_vcc 1
		.amdhsa_float_round_mode_32 0
		.amdhsa_float_round_mode_16_64 0
		.amdhsa_float_denorm_mode_32 3
		.amdhsa_float_denorm_mode_16_64 3
		.amdhsa_dx10_clamp 1
		.amdhsa_ieee_mode 1
		.amdhsa_fp16_overflow 0
		.amdhsa_workgroup_processor_mode 1
		.amdhsa_memory_ordered 1
		.amdhsa_forward_progress 0
		.amdhsa_shared_vgpr_count 0
		.amdhsa_exception_fp_ieee_invalid_op 0
		.amdhsa_exception_fp_denorm_src 0
		.amdhsa_exception_fp_ieee_div_zero 0
		.amdhsa_exception_fp_ieee_overflow 0
		.amdhsa_exception_fp_ieee_underflow 0
		.amdhsa_exception_fp_ieee_inexact 0
		.amdhsa_exception_int_div_zero 0
	.end_amdhsa_kernel
	.section	.text._ZN9rocsparseL39csr2bsr_nnz_block_dim_equals_one_kernelILj256EliEEvT1_21rocsparse_index_base_PKT0_S2_PS3_,"axG",@progbits,_ZN9rocsparseL39csr2bsr_nnz_block_dim_equals_one_kernelILj256EliEEvT1_21rocsparse_index_base_PKT0_S2_PS3_,comdat
.Lfunc_end12:
	.size	_ZN9rocsparseL39csr2bsr_nnz_block_dim_equals_one_kernelILj256EliEEvT1_21rocsparse_index_base_PKT0_S2_PS3_, .Lfunc_end12-_ZN9rocsparseL39csr2bsr_nnz_block_dim_equals_one_kernelILj256EliEEvT1_21rocsparse_index_base_PKT0_S2_PS3_
                                        ; -- End function
	.section	.AMDGPU.csdata,"",@progbits
; Kernel info:
; codeLenInByte = 164
; NumSgprs: 18
; NumVgprs: 4
; ScratchSize: 0
; MemoryBound: 0
; FloatMode: 240
; IeeeMode: 1
; LDSByteSize: 0 bytes/workgroup (compile time only)
; SGPRBlocks: 2
; VGPRBlocks: 0
; NumSGPRsForWavesPerEU: 18
; NumVGPRsForWavesPerEU: 4
; Occupancy: 16
; WaveLimiterHint : 0
; COMPUTE_PGM_RSRC2:SCRATCH_EN: 0
; COMPUTE_PGM_RSRC2:USER_SGPR: 15
; COMPUTE_PGM_RSRC2:TRAP_HANDLER: 0
; COMPUTE_PGM_RSRC2:TGID_X_EN: 1
; COMPUTE_PGM_RSRC2:TGID_Y_EN: 0
; COMPUTE_PGM_RSRC2:TGID_Z_EN: 0
; COMPUTE_PGM_RSRC2:TIDIG_COMP_CNT: 0
	.section	.text._ZN9rocsparseL46csr2bsr_nnz_wavefront_per_row_multipass_kernelILj256ELj16ELj4EliEEvT3_S1_S1_S1_S1_21rocsparse_index_base_PKT2_PKS1_S2_PS3_,"axG",@progbits,_ZN9rocsparseL46csr2bsr_nnz_wavefront_per_row_multipass_kernelILj256ELj16ELj4EliEEvT3_S1_S1_S1_S1_21rocsparse_index_base_PKT2_PKS1_S2_PS3_,comdat
	.globl	_ZN9rocsparseL46csr2bsr_nnz_wavefront_per_row_multipass_kernelILj256ELj16ELj4EliEEvT3_S1_S1_S1_S1_21rocsparse_index_base_PKT2_PKS1_S2_PS3_ ; -- Begin function _ZN9rocsparseL46csr2bsr_nnz_wavefront_per_row_multipass_kernelILj256ELj16ELj4EliEEvT3_S1_S1_S1_S1_21rocsparse_index_base_PKT2_PKS1_S2_PS3_
	.p2align	8
	.type	_ZN9rocsparseL46csr2bsr_nnz_wavefront_per_row_multipass_kernelILj256ELj16ELj4EliEEvT3_S1_S1_S1_S1_21rocsparse_index_base_PKT2_PKS1_S2_PS3_,@function
_ZN9rocsparseL46csr2bsr_nnz_wavefront_per_row_multipass_kernelILj256ELj16ELj4EliEEvT3_S1_S1_S1_S1_21rocsparse_index_base_PKT2_PKS1_S2_PS3_: ; @_ZN9rocsparseL46csr2bsr_nnz_wavefront_per_row_multipass_kernelILj256ELj16ELj4EliEEvT3_S1_S1_S1_S1_21rocsparse_index_base_PKT2_PKS1_S2_PS3_
; %bb.0:
	s_clause 0x1
	s_load_b128 s[4:7], s[0:1], 0x8
	s_load_b32 s2, s[0:1], 0x0
	v_lshrrev_b32_e32 v17, 4, v0
	v_bfe_u32 v6, v0, 2, 2
	s_load_b64 s[8:9], s[0:1], 0x18
	v_mov_b32_e32 v2, 0
	s_delay_alu instid0(VALU_DEP_3) | instskip(SKIP_2) | instid1(VALU_DEP_1)
	v_dual_mov_b32 v3, 0 :: v_dual_lshlrev_b32 v16, 2, v17
	v_lshl_or_b32 v1, s15, 4, v17
	s_waitcnt lgkmcnt(0)
	v_mad_u64_u32 v[4:5], null, v1, s6, v[6:7]
	v_mov_b32_e32 v5, 0
	ds_store_b32 v16, v5
	v_cmp_gt_i32_e32 vcc_lo, s2, v4
	v_cmp_gt_i32_e64 s2, s6, v6
	v_dual_mov_b32 v7, v3 :: v_dual_mov_b32 v6, v2
	s_waitcnt lgkmcnt(0)
	s_barrier
	s_delay_alu instid0(VALU_DEP_2)
	s_and_b32 s2, s2, vcc_lo
	buffer_gl0_inv
	s_and_saveexec_b32 s3, s2
	s_cbranch_execz .LBB13_2
; %bb.1:
	v_ashrrev_i32_e32 v5, 31, v4
	s_delay_alu instid0(VALU_DEP_1) | instskip(NEXT) | instid1(VALU_DEP_1)
	v_lshlrev_b64 v[5:6], 3, v[4:5]
	v_add_co_u32 v5, vcc_lo, s8, v5
	s_delay_alu instid0(VALU_DEP_2)
	v_add_co_ci_u32_e32 v6, vcc_lo, s9, v6, vcc_lo
	global_load_b64 v[6:7], v[5:6], off
	s_waitcnt vmcnt(0)
	v_sub_co_u32 v6, vcc_lo, v6, s7
	v_subrev_co_ci_u32_e32 v7, vcc_lo, 0, v7, vcc_lo
.LBB13_2:
	s_or_b32 exec_lo, exec_lo, s3
	s_and_saveexec_b32 s3, s2
	s_cbranch_execz .LBB13_4
; %bb.3:
	v_ashrrev_i32_e32 v5, 31, v4
	s_delay_alu instid0(VALU_DEP_1) | instskip(NEXT) | instid1(VALU_DEP_1)
	v_lshlrev_b64 v[2:3], 3, v[4:5]
	v_add_co_u32 v2, vcc_lo, s8, v2
	s_delay_alu instid0(VALU_DEP_2)
	v_add_co_ci_u32_e32 v3, vcc_lo, s9, v3, vcc_lo
	global_load_b64 v[2:3], v[2:3], off offset:8
	s_waitcnt vmcnt(0)
	v_sub_co_u32 v2, vcc_lo, v2, s7
	v_subrev_co_ci_u32_e32 v3, vcc_lo, 0, v3, vcc_lo
.LBB13_4:
	s_or_b32 exec_lo, exec_lo, s3
	v_and_b32_e32 v18, 15, v0
	s_cmp_lt_i32 s5, 1
	s_delay_alu instid0(VALU_DEP_1)
	v_cmp_eq_u32_e32 vcc_lo, 0, v18
	s_cbranch_scc1 .LBB13_18
; %bb.5:
	s_abs_i32 s10, s6
	v_mbcnt_lo_u32_b32 v8, -1, 0
	v_cvt_f32_u32_e32 v4, s10
	s_sub_i32 s2, 0, s10
	s_load_b64 s[8:9], s[0:1], 0x20
	v_dual_mov_b32 v19, 0 :: v_dual_and_b32 v0, 3, v0
	s_delay_alu instid0(VALU_DEP_2)
	v_rcp_iflag_f32_e32 v4, v4
	v_xor_b32_e32 v10, 2, v8
	v_xor_b32_e32 v11, 1, v8
	;; [unrolled: 1-line block ×4, first 2 shown]
	s_mov_b32 s11, 0
	s_ashr_i32 s6, s6, 31
	v_dual_mov_b32 v27, 1 :: v_dual_lshlrev_b32 v12, 2, v8
	s_waitcnt_depctr 0xfff
	v_dual_mul_f32 v9, 0x4f7ffffe, v4 :: v_dual_mov_b32 v4, 0
	v_mov_b32_e32 v5, 0
	v_or_b32_e32 v20, 12, v12
	v_or_b32_e32 v21, 60, v12
	s_delay_alu instid0(VALU_DEP_4) | instskip(NEXT) | instid1(VALU_DEP_1)
	v_cvt_u32_f32_e32 v9, v9
	v_mul_lo_u32 v15, s2, v9
	v_cmp_gt_i32_e64 s2, 32, v10
	s_delay_alu instid0(VALU_DEP_1) | instskip(SKIP_1) | instid1(VALU_DEP_4)
	v_cndmask_b32_e64 v10, v8, v10, s2
	v_cmp_gt_i32_e64 s2, 32, v11
	v_mul_hi_u32 v15, v9, v15
	s_delay_alu instid0(VALU_DEP_3) | instskip(NEXT) | instid1(VALU_DEP_3)
	v_lshlrev_b32_e32 v22, 2, v10
	v_cndmask_b32_e64 v11, v8, v11, s2
	v_cmp_gt_i32_e64 s2, 32, v13
	s_delay_alu instid0(VALU_DEP_4) | instskip(NEXT) | instid1(VALU_DEP_3)
	v_add_nc_u32_e32 v26, v9, v15
	v_lshlrev_b32_e32 v23, 2, v11
	s_delay_alu instid0(VALU_DEP_3) | instskip(SKIP_1) | instid1(VALU_DEP_2)
	v_cndmask_b32_e64 v13, v8, v13, s2
	v_cmp_gt_i32_e64 s2, 32, v14
	v_lshlrev_b32_e32 v24, 2, v13
	s_delay_alu instid0(VALU_DEP_2) | instskip(NEXT) | instid1(VALU_DEP_1)
	v_cndmask_b32_e64 v8, v8, v14, s2
	v_lshlrev_b32_e32 v25, 2, v8
	s_branch .LBB13_7
.LBB13_6:                               ;   in Loop: Header=BB13_7 Depth=1
	s_or_b32 exec_lo, exec_lo, s2
	ds_bpermute_b32 v4, v24, v28
	s_waitcnt lgkmcnt(0)
	buffer_gl0_inv
	v_min_i32_e32 v4, v4, v28
	ds_bpermute_b32 v5, v25, v4
	s_waitcnt lgkmcnt(0)
	v_min_i32_e32 v4, v5, v4
	ds_bpermute_b32 v5, v22, v4
	s_waitcnt lgkmcnt(0)
	;; [unrolled: 3-line block ×4, first 2 shown]
	v_cmp_le_i32_e64 s2, s5, v4
	v_ashrrev_i32_e32 v5, 31, v4
	s_delay_alu instid0(VALU_DEP_2) | instskip(NEXT) | instid1(SALU_CYCLE_1)
	s_or_b32 s11, s2, s11
	s_and_not1_b32 exec_lo, exec_lo, s11
	s_cbranch_execz .LBB13_17
.LBB13_7:                               ; =>This Loop Header: Depth=1
                                        ;     Child Loop BB13_10 Depth 2
	v_add_co_u32 v6, s2, v6, v0
	v_dual_mov_b32 v28, s5 :: v_dual_mov_b32 v11, v3
	v_add_co_ci_u32_e64 v7, s2, 0, v7, s2
	v_mov_b32_e32 v10, v2
	s_mov_b32 s12, exec_lo
	ds_store_b8 v17, v19 offset:64
	s_waitcnt lgkmcnt(0)
	buffer_gl0_inv
	v_cmpx_lt_i64_e64 v[6:7], v[2:3]
	s_cbranch_execz .LBB13_15
; %bb.8:                                ;   in Loop: Header=BB13_7 Depth=1
	v_lshlrev_b64 v[8:9], 2, v[6:7]
	v_dual_mov_b32 v28, s5 :: v_dual_mov_b32 v11, v3
	v_mov_b32_e32 v10, v2
	s_mov_b32 s13, 0
	s_delay_alu instid0(VALU_DEP_3) | instskip(NEXT) | instid1(VALU_DEP_1)
	v_add_co_u32 v8, s2, s8, v8
	v_add_co_ci_u32_e64 v9, s2, s9, v9, s2
	s_branch .LBB13_10
.LBB13_9:                               ;   in Loop: Header=BB13_10 Depth=2
	s_or_b32 exec_lo, exec_lo, s3
	v_add_co_u32 v6, s3, v6, 4
	s_delay_alu instid0(VALU_DEP_1) | instskip(SKIP_1) | instid1(VALU_DEP_1)
	v_add_co_ci_u32_e64 v7, s3, 0, v7, s3
	s_xor_b32 s2, s2, -1
	v_cmp_ge_i64_e64 s3, v[6:7], v[2:3]
	s_delay_alu instid0(VALU_DEP_1) | instskip(SKIP_1) | instid1(VALU_DEP_1)
	s_or_b32 s3, s2, s3
	v_add_co_u32 v8, s2, v8, 16
	v_add_co_ci_u32_e64 v9, s2, 0, v9, s2
	s_and_b32 s2, exec_lo, s3
	s_delay_alu instid0(SALU_CYCLE_1) | instskip(NEXT) | instid1(SALU_CYCLE_1)
	s_or_b32 s13, s2, s13
	s_and_not1_b32 exec_lo, exec_lo, s13
	s_cbranch_execz .LBB13_14
.LBB13_10:                              ;   Parent Loop BB13_7 Depth=1
                                        ; =>  This Inner Loop Header: Depth=2
	global_load_b32 v12, v[8:9], off
	s_waitcnt vmcnt(0)
	v_subrev_nc_u32_e32 v12, s7, v12
	s_delay_alu instid0(VALU_DEP_1) | instskip(NEXT) | instid1(VALU_DEP_1)
	v_sub_nc_u32_e32 v13, 0, v12
	v_max_i32_e32 v13, v12, v13
	v_ashrrev_i32_e32 v12, 31, v12
	s_delay_alu instid0(VALU_DEP_2) | instskip(NEXT) | instid1(VALU_DEP_2)
	v_mul_hi_u32 v14, v13, v26
	v_xor_b32_e32 v12, s6, v12
	s_delay_alu instid0(VALU_DEP_2) | instskip(NEXT) | instid1(VALU_DEP_1)
	v_mul_lo_u32 v15, v14, s10
	v_sub_nc_u32_e32 v13, v13, v15
	v_add_nc_u32_e32 v15, 1, v14
	s_delay_alu instid0(VALU_DEP_2) | instskip(SKIP_1) | instid1(VALU_DEP_1)
	v_subrev_nc_u32_e32 v29, s10, v13
	v_cmp_le_u32_e64 s2, s10, v13
	v_cndmask_b32_e64 v14, v14, v15, s2
	s_delay_alu instid0(VALU_DEP_3) | instskip(NEXT) | instid1(VALU_DEP_2)
	v_cndmask_b32_e64 v13, v13, v29, s2
	v_add_nc_u32_e32 v15, 1, v14
	s_delay_alu instid0(VALU_DEP_2) | instskip(NEXT) | instid1(VALU_DEP_1)
	v_cmp_le_u32_e64 s2, s10, v13
	v_cndmask_b32_e64 v13, v14, v15, s2
	s_delay_alu instid0(VALU_DEP_1) | instskip(NEXT) | instid1(VALU_DEP_1)
	v_xor_b32_e32 v13, v13, v12
	v_sub_nc_u32_e32 v14, v13, v12
	v_dual_mov_b32 v13, v11 :: v_dual_mov_b32 v12, v10
	s_delay_alu instid0(VALU_DEP_2) | instskip(NEXT) | instid1(VALU_DEP_1)
	v_ashrrev_i32_e32 v15, 31, v14
	v_cmp_eq_u64_e64 s2, v[4:5], v[14:15]
	v_cmp_ne_u64_e64 s3, v[4:5], v[14:15]
	s_delay_alu instid0(VALU_DEP_1) | instskip(NEXT) | instid1(SALU_CYCLE_1)
	s_and_saveexec_b32 s14, s3
	s_xor_b32 s3, exec_lo, s14
; %bb.11:                               ;   in Loop: Header=BB13_10 Depth=2
	v_min_i32_e32 v28, v14, v28
                                        ; implicit-def: $vgpr12_vgpr13
; %bb.12:                               ;   in Loop: Header=BB13_10 Depth=2
	s_or_saveexec_b32 s3, s3
	v_dual_mov_b32 v11, v7 :: v_dual_mov_b32 v10, v6
	s_xor_b32 exec_lo, exec_lo, s3
	s_cbranch_execz .LBB13_9
; %bb.13:                               ;   in Loop: Header=BB13_10 Depth=2
	v_dual_mov_b32 v10, v12 :: v_dual_mov_b32 v11, v13
	ds_store_b8 v17, v27 offset:64
	s_branch .LBB13_9
.LBB13_14:                              ;   in Loop: Header=BB13_7 Depth=1
	s_or_b32 exec_lo, exec_lo, s13
.LBB13_15:                              ;   in Loop: Header=BB13_7 Depth=1
	s_delay_alu instid0(SALU_CYCLE_1)
	s_or_b32 exec_lo, exec_lo, s12
	ds_bpermute_b32 v4, v22, v10
	ds_bpermute_b32 v5, v22, v11
	s_waitcnt lgkmcnt(0)
	buffer_gl0_inv
	ds_load_u8 v8, v17 offset:64
	v_cmp_lt_i64_e64 s2, v[4:5], v[10:11]
	s_delay_alu instid0(VALU_DEP_1)
	v_cndmask_b32_e64 v5, v11, v5, s2
	v_cndmask_b32_e64 v4, v10, v4, s2
	ds_bpermute_b32 v7, v23, v5
	ds_bpermute_b32 v6, v23, v4
	s_waitcnt lgkmcnt(0)
	v_cmp_lt_i64_e64 s2, v[6:7], v[4:5]
	s_delay_alu instid0(VALU_DEP_1) | instskip(SKIP_4) | instid1(VALU_DEP_1)
	v_cndmask_b32_e64 v5, v5, v7, s2
	v_cndmask_b32_e64 v4, v4, v6, s2
	ds_bpermute_b32 v7, v20, v5
	ds_bpermute_b32 v6, v20, v4
	v_and_b32_e32 v4, 1, v8
	v_cmp_eq_u32_e64 s2, 1, v4
	s_delay_alu instid0(VALU_DEP_1) | instskip(NEXT) | instid1(SALU_CYCLE_1)
	s_and_b32 s3, vcc_lo, s2
	s_and_saveexec_b32 s2, s3
	s_cbranch_execz .LBB13_6
; %bb.16:                               ;   in Loop: Header=BB13_7 Depth=1
	ds_load_b32 v4, v16
	s_waitcnt lgkmcnt(0)
	v_add_nc_u32_e32 v4, 1, v4
	ds_store_b32 v16, v4
	s_branch .LBB13_6
.LBB13_17:
	s_or_b32 exec_lo, exec_lo, s11
.LBB13_18:
	s_delay_alu instid0(SALU_CYCLE_1)
	s_mov_b32 s2, exec_lo
	v_cmpx_eq_u32_e32 0, v18
	s_cbranch_execz .LBB13_21
; %bb.19:
	s_clause 0x1
	s_load_b32 s2, s[0:1], 0x28
	s_load_b64 s[0:1], s[0:1], 0x30
	v_cmp_gt_u32_e32 vcc_lo, s4, v1
	s_waitcnt lgkmcnt(0)
	v_dual_mov_b32 v3, 0 :: v_dual_mov_b32 v2, s2
	global_store_b64 v3, v[2:3], s[0:1]
	s_and_b32 exec_lo, exec_lo, vcc_lo
	s_cbranch_execz .LBB13_21
; %bb.20:
	ds_load_b32 v0, v16
	v_mov_b32_e32 v2, v3
	s_delay_alu instid0(VALU_DEP_1) | instskip(NEXT) | instid1(VALU_DEP_1)
	v_lshlrev_b64 v[1:2], 3, v[1:2]
	v_add_co_u32 v3, vcc_lo, s0, v1
	s_delay_alu instid0(VALU_DEP_2)
	v_add_co_ci_u32_e32 v4, vcc_lo, s1, v2, vcc_lo
	s_waitcnt lgkmcnt(0)
	v_ashrrev_i32_e32 v1, 31, v0
	global_store_b64 v[3:4], v[0:1], off offset:8
.LBB13_21:
	s_nop 0
	s_sendmsg sendmsg(MSG_DEALLOC_VGPRS)
	s_endpgm
	.section	.rodata,"a",@progbits
	.p2align	6, 0x0
	.amdhsa_kernel _ZN9rocsparseL46csr2bsr_nnz_wavefront_per_row_multipass_kernelILj256ELj16ELj4EliEEvT3_S1_S1_S1_S1_21rocsparse_index_base_PKT2_PKS1_S2_PS3_
		.amdhsa_group_segment_fixed_size 80
		.amdhsa_private_segment_fixed_size 0
		.amdhsa_kernarg_size 56
		.amdhsa_user_sgpr_count 15
		.amdhsa_user_sgpr_dispatch_ptr 0
		.amdhsa_user_sgpr_queue_ptr 0
		.amdhsa_user_sgpr_kernarg_segment_ptr 1
		.amdhsa_user_sgpr_dispatch_id 0
		.amdhsa_user_sgpr_private_segment_size 0
		.amdhsa_wavefront_size32 1
		.amdhsa_uses_dynamic_stack 0
		.amdhsa_enable_private_segment 0
		.amdhsa_system_sgpr_workgroup_id_x 1
		.amdhsa_system_sgpr_workgroup_id_y 0
		.amdhsa_system_sgpr_workgroup_id_z 0
		.amdhsa_system_sgpr_workgroup_info 0
		.amdhsa_system_vgpr_workitem_id 0
		.amdhsa_next_free_vgpr 30
		.amdhsa_next_free_sgpr 16
		.amdhsa_reserve_vcc 1
		.amdhsa_float_round_mode_32 0
		.amdhsa_float_round_mode_16_64 0
		.amdhsa_float_denorm_mode_32 3
		.amdhsa_float_denorm_mode_16_64 3
		.amdhsa_dx10_clamp 1
		.amdhsa_ieee_mode 1
		.amdhsa_fp16_overflow 0
		.amdhsa_workgroup_processor_mode 1
		.amdhsa_memory_ordered 1
		.amdhsa_forward_progress 0
		.amdhsa_shared_vgpr_count 0
		.amdhsa_exception_fp_ieee_invalid_op 0
		.amdhsa_exception_fp_denorm_src 0
		.amdhsa_exception_fp_ieee_div_zero 0
		.amdhsa_exception_fp_ieee_overflow 0
		.amdhsa_exception_fp_ieee_underflow 0
		.amdhsa_exception_fp_ieee_inexact 0
		.amdhsa_exception_int_div_zero 0
	.end_amdhsa_kernel
	.section	.text._ZN9rocsparseL46csr2bsr_nnz_wavefront_per_row_multipass_kernelILj256ELj16ELj4EliEEvT3_S1_S1_S1_S1_21rocsparse_index_base_PKT2_PKS1_S2_PS3_,"axG",@progbits,_ZN9rocsparseL46csr2bsr_nnz_wavefront_per_row_multipass_kernelILj256ELj16ELj4EliEEvT3_S1_S1_S1_S1_21rocsparse_index_base_PKT2_PKS1_S2_PS3_,comdat
.Lfunc_end13:
	.size	_ZN9rocsparseL46csr2bsr_nnz_wavefront_per_row_multipass_kernelILj256ELj16ELj4EliEEvT3_S1_S1_S1_S1_21rocsparse_index_base_PKT2_PKS1_S2_PS3_, .Lfunc_end13-_ZN9rocsparseL46csr2bsr_nnz_wavefront_per_row_multipass_kernelILj256ELj16ELj4EliEEvT3_S1_S1_S1_S1_21rocsparse_index_base_PKT2_PKS1_S2_PS3_
                                        ; -- End function
	.section	.AMDGPU.csdata,"",@progbits
; Kernel info:
; codeLenInByte = 1396
; NumSgprs: 18
; NumVgprs: 30
; ScratchSize: 0
; MemoryBound: 0
; FloatMode: 240
; IeeeMode: 1
; LDSByteSize: 80 bytes/workgroup (compile time only)
; SGPRBlocks: 2
; VGPRBlocks: 3
; NumSGPRsForWavesPerEU: 18
; NumVGPRsForWavesPerEU: 30
; Occupancy: 16
; WaveLimiterHint : 0
; COMPUTE_PGM_RSRC2:SCRATCH_EN: 0
; COMPUTE_PGM_RSRC2:USER_SGPR: 15
; COMPUTE_PGM_RSRC2:TRAP_HANDLER: 0
; COMPUTE_PGM_RSRC2:TGID_X_EN: 1
; COMPUTE_PGM_RSRC2:TGID_Y_EN: 0
; COMPUTE_PGM_RSRC2:TGID_Z_EN: 0
; COMPUTE_PGM_RSRC2:TIDIG_COMP_CNT: 0
	.section	.text._ZN9rocsparseL46csr2bsr_nnz_wavefront_per_row_multipass_kernelILj256ELj64ELj8EliEEvT3_S1_S1_S1_S1_21rocsparse_index_base_PKT2_PKS1_S2_PS3_,"axG",@progbits,_ZN9rocsparseL46csr2bsr_nnz_wavefront_per_row_multipass_kernelILj256ELj64ELj8EliEEvT3_S1_S1_S1_S1_21rocsparse_index_base_PKT2_PKS1_S2_PS3_,comdat
	.globl	_ZN9rocsparseL46csr2bsr_nnz_wavefront_per_row_multipass_kernelILj256ELj64ELj8EliEEvT3_S1_S1_S1_S1_21rocsparse_index_base_PKT2_PKS1_S2_PS3_ ; -- Begin function _ZN9rocsparseL46csr2bsr_nnz_wavefront_per_row_multipass_kernelILj256ELj64ELj8EliEEvT3_S1_S1_S1_S1_21rocsparse_index_base_PKT2_PKS1_S2_PS3_
	.p2align	8
	.type	_ZN9rocsparseL46csr2bsr_nnz_wavefront_per_row_multipass_kernelILj256ELj64ELj8EliEEvT3_S1_S1_S1_S1_21rocsparse_index_base_PKT2_PKS1_S2_PS3_,@function
_ZN9rocsparseL46csr2bsr_nnz_wavefront_per_row_multipass_kernelILj256ELj64ELj8EliEEvT3_S1_S1_S1_S1_21rocsparse_index_base_PKT2_PKS1_S2_PS3_: ; @_ZN9rocsparseL46csr2bsr_nnz_wavefront_per_row_multipass_kernelILj256ELj64ELj8EliEEvT3_S1_S1_S1_S1_21rocsparse_index_base_PKT2_PKS1_S2_PS3_
; %bb.0:
	s_clause 0x1
	s_load_b128 s[4:7], s[0:1], 0x8
	s_load_b32 s2, s[0:1], 0x0
	v_lshrrev_b32_e32 v17, 6, v0
	v_bfe_u32 v6, v0, 3, 3
	s_load_b64 s[8:9], s[0:1], 0x18
	v_mov_b32_e32 v2, 0
	s_delay_alu instid0(VALU_DEP_3) | instskip(SKIP_2) | instid1(VALU_DEP_1)
	v_dual_mov_b32 v3, 0 :: v_dual_lshlrev_b32 v16, 2, v17
	v_lshl_or_b32 v1, s15, 2, v17
	s_waitcnt lgkmcnt(0)
	v_mad_u64_u32 v[4:5], null, v1, s6, v[6:7]
	v_mov_b32_e32 v5, 0
	ds_store_b32 v16, v5
	v_cmp_gt_i32_e32 vcc_lo, s2, v4
	v_cmp_gt_i32_e64 s2, s6, v6
	v_dual_mov_b32 v7, v3 :: v_dual_mov_b32 v6, v2
	s_waitcnt lgkmcnt(0)
	s_barrier
	s_delay_alu instid0(VALU_DEP_2)
	s_and_b32 s2, s2, vcc_lo
	buffer_gl0_inv
	s_and_saveexec_b32 s3, s2
	s_cbranch_execz .LBB14_2
; %bb.1:
	v_ashrrev_i32_e32 v5, 31, v4
	s_delay_alu instid0(VALU_DEP_1) | instskip(NEXT) | instid1(VALU_DEP_1)
	v_lshlrev_b64 v[5:6], 3, v[4:5]
	v_add_co_u32 v5, vcc_lo, s8, v5
	s_delay_alu instid0(VALU_DEP_2)
	v_add_co_ci_u32_e32 v6, vcc_lo, s9, v6, vcc_lo
	global_load_b64 v[6:7], v[5:6], off
	s_waitcnt vmcnt(0)
	v_sub_co_u32 v6, vcc_lo, v6, s7
	v_subrev_co_ci_u32_e32 v7, vcc_lo, 0, v7, vcc_lo
.LBB14_2:
	s_or_b32 exec_lo, exec_lo, s3
	s_and_saveexec_b32 s3, s2
	s_cbranch_execz .LBB14_4
; %bb.3:
	v_ashrrev_i32_e32 v5, 31, v4
	s_delay_alu instid0(VALU_DEP_1) | instskip(NEXT) | instid1(VALU_DEP_1)
	v_lshlrev_b64 v[2:3], 3, v[4:5]
	v_add_co_u32 v2, vcc_lo, s8, v2
	s_delay_alu instid0(VALU_DEP_2)
	v_add_co_ci_u32_e32 v3, vcc_lo, s9, v3, vcc_lo
	global_load_b64 v[2:3], v[2:3], off offset:8
	s_waitcnt vmcnt(0)
	v_sub_co_u32 v2, vcc_lo, v2, s7
	v_subrev_co_ci_u32_e32 v3, vcc_lo, 0, v3, vcc_lo
.LBB14_4:
	s_or_b32 exec_lo, exec_lo, s3
	v_and_b32_e32 v18, 63, v0
	s_cmp_lt_i32 s5, 1
	s_delay_alu instid0(VALU_DEP_1)
	v_cmp_eq_u32_e32 vcc_lo, 0, v18
	s_cbranch_scc1 .LBB14_18
; %bb.5:
	v_mbcnt_lo_u32_b32 v9, -1, 0
	s_abs_i32 s10, s6
	s_load_b64 s[8:9], s[0:1], 0x20
	v_cvt_f32_u32_e32 v4, s10
	s_sub_i32 s3, 0, s10
	v_xor_b32_e32 v10, 4, v9
	v_xor_b32_e32 v11, 2, v9
	;; [unrolled: 1-line block ×3, first 2 shown]
	v_rcp_iflag_f32_e32 v8, v4
	v_or_b32_e32 v13, 32, v9
	v_cmp_gt_i32_e64 s2, 32, v10
	v_xor_b32_e32 v14, 16, v9
	v_xor_b32_e32 v15, 8, v9
	v_lshl_or_b32 v21, v9, 2, 28
	v_dual_mov_b32 v19, 0 :: v_dual_and_b32 v0, 7, v0
	v_cndmask_b32_e64 v10, v9, v10, s2
	v_cmp_gt_i32_e64 s2, 32, v11
	v_bfrev_b32_e32 v20, 0.5
	s_mov_b32 s11, 0
	s_ashr_i32 s6, s6, 31
	v_mul_f32_e32 v8, 0x4f7ffffe, v8
	v_cndmask_b32_e64 v11, v9, v11, s2
	v_mov_b32_e32 v4, 0
	v_mov_b32_e32 v5, 0
	v_cmp_gt_i32_e64 s2, 32, v12
	v_cvt_u32_f32_e32 v8, v8
	v_lshlrev_b32_e32 v23, 2, v11
	v_mov_b32_e32 v29, 1
	s_delay_alu instid0(VALU_DEP_4) | instskip(SKIP_2) | instid1(VALU_DEP_3)
	v_cndmask_b32_e64 v12, v9, v12, s2
	v_cmp_gt_i32_e64 s2, 32, v13
	v_mul_lo_u32 v22, s3, v8
	v_lshlrev_b32_e32 v24, 2, v12
	s_delay_alu instid0(VALU_DEP_3) | instskip(SKIP_1) | instid1(VALU_DEP_4)
	v_cndmask_b32_e64 v13, v9, v13, s2
	v_cmp_gt_i32_e64 s2, 32, v14
	v_mul_hi_u32 v28, v8, v22
	v_lshlrev_b32_e32 v22, 2, v10
	s_delay_alu instid0(VALU_DEP_3) | instskip(SKIP_2) | instid1(VALU_DEP_3)
	v_cndmask_b32_e64 v14, v9, v14, s2
	v_cmp_gt_i32_e64 s2, 32, v15
	v_lshlrev_b32_e32 v25, 2, v13
	v_lshlrev_b32_e32 v26, 2, v14
	s_delay_alu instid0(VALU_DEP_3) | instskip(SKIP_1) | instid1(VALU_DEP_2)
	v_cndmask_b32_e64 v9, v9, v15, s2
	v_add_nc_u32_e32 v28, v8, v28
	v_lshlrev_b32_e32 v27, 2, v9
	s_branch .LBB14_7
.LBB14_6:                               ;   in Loop: Header=BB14_7 Depth=1
	s_or_b32 exec_lo, exec_lo, s2
	ds_bpermute_b32 v4, v25, v30
	s_waitcnt lgkmcnt(0)
	buffer_gl0_inv
	v_min_i32_e32 v4, v4, v30
	ds_bpermute_b32 v5, v26, v4
	s_waitcnt lgkmcnt(0)
	v_min_i32_e32 v4, v5, v4
	ds_bpermute_b32 v5, v27, v4
	s_waitcnt lgkmcnt(0)
	;; [unrolled: 3-line block ×6, first 2 shown]
	v_cmp_le_i32_e64 s2, s5, v4
	v_ashrrev_i32_e32 v5, 31, v4
	s_delay_alu instid0(VALU_DEP_2) | instskip(NEXT) | instid1(SALU_CYCLE_1)
	s_or_b32 s11, s2, s11
	s_and_not1_b32 exec_lo, exec_lo, s11
	s_cbranch_execz .LBB14_17
.LBB14_7:                               ; =>This Loop Header: Depth=1
                                        ;     Child Loop BB14_10 Depth 2
	v_add_co_u32 v6, s2, v6, v0
	v_dual_mov_b32 v30, s5 :: v_dual_mov_b32 v11, v3
	v_add_co_ci_u32_e64 v7, s2, 0, v7, s2
	v_mov_b32_e32 v10, v2
	s_mov_b32 s12, exec_lo
	ds_store_b8 v17, v19 offset:16
	s_waitcnt lgkmcnt(0)
	buffer_gl0_inv
	v_cmpx_lt_i64_e64 v[6:7], v[2:3]
	s_cbranch_execz .LBB14_15
; %bb.8:                                ;   in Loop: Header=BB14_7 Depth=1
	v_lshlrev_b64 v[8:9], 2, v[6:7]
	v_dual_mov_b32 v30, s5 :: v_dual_mov_b32 v11, v3
	v_mov_b32_e32 v10, v2
	s_mov_b32 s13, 0
	s_delay_alu instid0(VALU_DEP_3) | instskip(NEXT) | instid1(VALU_DEP_1)
	v_add_co_u32 v8, s2, s8, v8
	v_add_co_ci_u32_e64 v9, s2, s9, v9, s2
	s_branch .LBB14_10
.LBB14_9:                               ;   in Loop: Header=BB14_10 Depth=2
	s_or_b32 exec_lo, exec_lo, s3
	v_add_co_u32 v6, s3, v6, 8
	s_delay_alu instid0(VALU_DEP_1) | instskip(SKIP_1) | instid1(VALU_DEP_1)
	v_add_co_ci_u32_e64 v7, s3, 0, v7, s3
	s_xor_b32 s2, s2, -1
	v_cmp_ge_i64_e64 s3, v[6:7], v[2:3]
	s_delay_alu instid0(VALU_DEP_1) | instskip(SKIP_1) | instid1(VALU_DEP_1)
	s_or_b32 s3, s2, s3
	v_add_co_u32 v8, s2, v8, 32
	v_add_co_ci_u32_e64 v9, s2, 0, v9, s2
	s_and_b32 s2, exec_lo, s3
	s_delay_alu instid0(SALU_CYCLE_1) | instskip(NEXT) | instid1(SALU_CYCLE_1)
	s_or_b32 s13, s2, s13
	s_and_not1_b32 exec_lo, exec_lo, s13
	s_cbranch_execz .LBB14_14
.LBB14_10:                              ;   Parent Loop BB14_7 Depth=1
                                        ; =>  This Inner Loop Header: Depth=2
	global_load_b32 v12, v[8:9], off
	s_waitcnt vmcnt(0)
	v_subrev_nc_u32_e32 v12, s7, v12
	s_delay_alu instid0(VALU_DEP_1) | instskip(NEXT) | instid1(VALU_DEP_1)
	v_sub_nc_u32_e32 v13, 0, v12
	v_max_i32_e32 v13, v12, v13
	v_ashrrev_i32_e32 v12, 31, v12
	s_delay_alu instid0(VALU_DEP_2) | instskip(NEXT) | instid1(VALU_DEP_2)
	v_mul_hi_u32 v14, v13, v28
	v_xor_b32_e32 v12, s6, v12
	s_delay_alu instid0(VALU_DEP_2) | instskip(NEXT) | instid1(VALU_DEP_1)
	v_mul_lo_u32 v15, v14, s10
	v_sub_nc_u32_e32 v13, v13, v15
	v_add_nc_u32_e32 v15, 1, v14
	s_delay_alu instid0(VALU_DEP_2) | instskip(SKIP_1) | instid1(VALU_DEP_1)
	v_subrev_nc_u32_e32 v31, s10, v13
	v_cmp_le_u32_e64 s2, s10, v13
	v_cndmask_b32_e64 v14, v14, v15, s2
	s_delay_alu instid0(VALU_DEP_3) | instskip(NEXT) | instid1(VALU_DEP_2)
	v_cndmask_b32_e64 v13, v13, v31, s2
	v_add_nc_u32_e32 v15, 1, v14
	s_delay_alu instid0(VALU_DEP_2) | instskip(NEXT) | instid1(VALU_DEP_1)
	v_cmp_le_u32_e64 s2, s10, v13
	v_cndmask_b32_e64 v13, v14, v15, s2
	s_delay_alu instid0(VALU_DEP_1) | instskip(NEXT) | instid1(VALU_DEP_1)
	v_xor_b32_e32 v13, v13, v12
	v_sub_nc_u32_e32 v14, v13, v12
	v_dual_mov_b32 v13, v11 :: v_dual_mov_b32 v12, v10
	s_delay_alu instid0(VALU_DEP_2) | instskip(NEXT) | instid1(VALU_DEP_1)
	v_ashrrev_i32_e32 v15, 31, v14
	v_cmp_eq_u64_e64 s2, v[4:5], v[14:15]
	v_cmp_ne_u64_e64 s3, v[4:5], v[14:15]
	s_delay_alu instid0(VALU_DEP_1) | instskip(NEXT) | instid1(SALU_CYCLE_1)
	s_and_saveexec_b32 s14, s3
	s_xor_b32 s3, exec_lo, s14
; %bb.11:                               ;   in Loop: Header=BB14_10 Depth=2
	v_min_i32_e32 v30, v14, v30
                                        ; implicit-def: $vgpr12_vgpr13
; %bb.12:                               ;   in Loop: Header=BB14_10 Depth=2
	s_or_saveexec_b32 s3, s3
	v_dual_mov_b32 v11, v7 :: v_dual_mov_b32 v10, v6
	s_xor_b32 exec_lo, exec_lo, s3
	s_cbranch_execz .LBB14_9
; %bb.13:                               ;   in Loop: Header=BB14_10 Depth=2
	v_dual_mov_b32 v10, v12 :: v_dual_mov_b32 v11, v13
	ds_store_b8 v17, v29 offset:16
	s_branch .LBB14_9
.LBB14_14:                              ;   in Loop: Header=BB14_7 Depth=1
	s_or_b32 exec_lo, exec_lo, s13
.LBB14_15:                              ;   in Loop: Header=BB14_7 Depth=1
	s_delay_alu instid0(SALU_CYCLE_1)
	s_or_b32 exec_lo, exec_lo, s12
	ds_bpermute_b32 v4, v22, v10
	ds_bpermute_b32 v5, v22, v11
	s_waitcnt lgkmcnt(0)
	buffer_gl0_inv
	ds_load_u8 v8, v17 offset:16
	v_cmp_lt_i64_e64 s2, v[4:5], v[10:11]
	s_delay_alu instid0(VALU_DEP_1)
	v_cndmask_b32_e64 v5, v11, v5, s2
	v_cndmask_b32_e64 v4, v10, v4, s2
	ds_bpermute_b32 v7, v23, v5
	ds_bpermute_b32 v6, v23, v4
	s_waitcnt lgkmcnt(0)
	v_cmp_lt_i64_e64 s2, v[6:7], v[4:5]
	s_delay_alu instid0(VALU_DEP_1)
	v_cndmask_b32_e64 v5, v5, v7, s2
	v_cndmask_b32_e64 v4, v4, v6, s2
	ds_bpermute_b32 v7, v24, v5
	ds_bpermute_b32 v6, v24, v4
	s_waitcnt lgkmcnt(0)
	v_cmp_lt_i64_e64 s2, v[6:7], v[4:5]
	s_delay_alu instid0(VALU_DEP_1) | instskip(SKIP_4) | instid1(VALU_DEP_1)
	v_cndmask_b32_e64 v5, v5, v7, s2
	v_cndmask_b32_e64 v4, v4, v6, s2
	ds_bpermute_b32 v7, v21, v5
	ds_bpermute_b32 v6, v21, v4
	v_and_b32_e32 v4, 1, v8
	v_cmp_eq_u32_e64 s2, 1, v4
	s_delay_alu instid0(VALU_DEP_1) | instskip(NEXT) | instid1(SALU_CYCLE_1)
	s_and_b32 s3, vcc_lo, s2
	s_and_saveexec_b32 s2, s3
	s_cbranch_execz .LBB14_6
; %bb.16:                               ;   in Loop: Header=BB14_7 Depth=1
	ds_load_b32 v4, v16
	s_waitcnt lgkmcnt(0)
	v_add_nc_u32_e32 v4, 1, v4
	ds_store_b32 v16, v4
	s_branch .LBB14_6
.LBB14_17:
	s_or_b32 exec_lo, exec_lo, s11
.LBB14_18:
	s_delay_alu instid0(SALU_CYCLE_1)
	s_mov_b32 s2, exec_lo
	v_cmpx_eq_u32_e32 0, v18
	s_cbranch_execz .LBB14_21
; %bb.19:
	s_clause 0x1
	s_load_b32 s2, s[0:1], 0x28
	s_load_b64 s[0:1], s[0:1], 0x30
	v_cmp_gt_u32_e32 vcc_lo, s4, v1
	s_waitcnt lgkmcnt(0)
	v_dual_mov_b32 v3, 0 :: v_dual_mov_b32 v2, s2
	global_store_b64 v3, v[2:3], s[0:1]
	s_and_b32 exec_lo, exec_lo, vcc_lo
	s_cbranch_execz .LBB14_21
; %bb.20:
	ds_load_b32 v0, v16
	v_mov_b32_e32 v2, v3
	s_delay_alu instid0(VALU_DEP_1) | instskip(NEXT) | instid1(VALU_DEP_1)
	v_lshlrev_b64 v[1:2], 3, v[1:2]
	v_add_co_u32 v3, vcc_lo, s0, v1
	s_delay_alu instid0(VALU_DEP_2)
	v_add_co_ci_u32_e32 v4, vcc_lo, s1, v2, vcc_lo
	s_waitcnt lgkmcnt(0)
	v_ashrrev_i32_e32 v1, 31, v0
	global_store_b64 v[3:4], v[0:1], off offset:8
.LBB14_21:
	s_nop 0
	s_sendmsg sendmsg(MSG_DEALLOC_VGPRS)
	s_endpgm
	.section	.rodata,"a",@progbits
	.p2align	6, 0x0
	.amdhsa_kernel _ZN9rocsparseL46csr2bsr_nnz_wavefront_per_row_multipass_kernelILj256ELj64ELj8EliEEvT3_S1_S1_S1_S1_21rocsparse_index_base_PKT2_PKS1_S2_PS3_
		.amdhsa_group_segment_fixed_size 20
		.amdhsa_private_segment_fixed_size 0
		.amdhsa_kernarg_size 56
		.amdhsa_user_sgpr_count 15
		.amdhsa_user_sgpr_dispatch_ptr 0
		.amdhsa_user_sgpr_queue_ptr 0
		.amdhsa_user_sgpr_kernarg_segment_ptr 1
		.amdhsa_user_sgpr_dispatch_id 0
		.amdhsa_user_sgpr_private_segment_size 0
		.amdhsa_wavefront_size32 1
		.amdhsa_uses_dynamic_stack 0
		.amdhsa_enable_private_segment 0
		.amdhsa_system_sgpr_workgroup_id_x 1
		.amdhsa_system_sgpr_workgroup_id_y 0
		.amdhsa_system_sgpr_workgroup_id_z 0
		.amdhsa_system_sgpr_workgroup_info 0
		.amdhsa_system_vgpr_workitem_id 0
		.amdhsa_next_free_vgpr 32
		.amdhsa_next_free_sgpr 16
		.amdhsa_reserve_vcc 1
		.amdhsa_float_round_mode_32 0
		.amdhsa_float_round_mode_16_64 0
		.amdhsa_float_denorm_mode_32 3
		.amdhsa_float_denorm_mode_16_64 3
		.amdhsa_dx10_clamp 1
		.amdhsa_ieee_mode 1
		.amdhsa_fp16_overflow 0
		.amdhsa_workgroup_processor_mode 1
		.amdhsa_memory_ordered 1
		.amdhsa_forward_progress 0
		.amdhsa_shared_vgpr_count 0
		.amdhsa_exception_fp_ieee_invalid_op 0
		.amdhsa_exception_fp_denorm_src 0
		.amdhsa_exception_fp_ieee_div_zero 0
		.amdhsa_exception_fp_ieee_overflow 0
		.amdhsa_exception_fp_ieee_underflow 0
		.amdhsa_exception_fp_ieee_inexact 0
		.amdhsa_exception_int_div_zero 0
	.end_amdhsa_kernel
	.section	.text._ZN9rocsparseL46csr2bsr_nnz_wavefront_per_row_multipass_kernelILj256ELj64ELj8EliEEvT3_S1_S1_S1_S1_21rocsparse_index_base_PKT2_PKS1_S2_PS3_,"axG",@progbits,_ZN9rocsparseL46csr2bsr_nnz_wavefront_per_row_multipass_kernelILj256ELj64ELj8EliEEvT3_S1_S1_S1_S1_21rocsparse_index_base_PKT2_PKS1_S2_PS3_,comdat
.Lfunc_end14:
	.size	_ZN9rocsparseL46csr2bsr_nnz_wavefront_per_row_multipass_kernelILj256ELj64ELj8EliEEvT3_S1_S1_S1_S1_21rocsparse_index_base_PKT2_PKS1_S2_PS3_, .Lfunc_end14-_ZN9rocsparseL46csr2bsr_nnz_wavefront_per_row_multipass_kernelILj256ELj64ELj8EliEEvT3_S1_S1_S1_S1_21rocsparse_index_base_PKT2_PKS1_S2_PS3_
                                        ; -- End function
	.section	.AMDGPU.csdata,"",@progbits
; Kernel info:
; codeLenInByte = 1508
; NumSgprs: 18
; NumVgprs: 32
; ScratchSize: 0
; MemoryBound: 0
; FloatMode: 240
; IeeeMode: 1
; LDSByteSize: 20 bytes/workgroup (compile time only)
; SGPRBlocks: 2
; VGPRBlocks: 3
; NumSGPRsForWavesPerEU: 18
; NumVGPRsForWavesPerEU: 32
; Occupancy: 16
; WaveLimiterHint : 0
; COMPUTE_PGM_RSRC2:SCRATCH_EN: 0
; COMPUTE_PGM_RSRC2:USER_SGPR: 15
; COMPUTE_PGM_RSRC2:TRAP_HANDLER: 0
; COMPUTE_PGM_RSRC2:TGID_X_EN: 1
; COMPUTE_PGM_RSRC2:TGID_Y_EN: 0
; COMPUTE_PGM_RSRC2:TGID_Z_EN: 0
; COMPUTE_PGM_RSRC2:TIDIG_COMP_CNT: 0
	.section	.text._ZN9rocsparseL46csr2bsr_nnz_wavefront_per_row_multipass_kernelILj256ELj32ELj8EliEEvT3_S1_S1_S1_S1_21rocsparse_index_base_PKT2_PKS1_S2_PS3_,"axG",@progbits,_ZN9rocsparseL46csr2bsr_nnz_wavefront_per_row_multipass_kernelILj256ELj32ELj8EliEEvT3_S1_S1_S1_S1_21rocsparse_index_base_PKT2_PKS1_S2_PS3_,comdat
	.globl	_ZN9rocsparseL46csr2bsr_nnz_wavefront_per_row_multipass_kernelILj256ELj32ELj8EliEEvT3_S1_S1_S1_S1_21rocsparse_index_base_PKT2_PKS1_S2_PS3_ ; -- Begin function _ZN9rocsparseL46csr2bsr_nnz_wavefront_per_row_multipass_kernelILj256ELj32ELj8EliEEvT3_S1_S1_S1_S1_21rocsparse_index_base_PKT2_PKS1_S2_PS3_
	.p2align	8
	.type	_ZN9rocsparseL46csr2bsr_nnz_wavefront_per_row_multipass_kernelILj256ELj32ELj8EliEEvT3_S1_S1_S1_S1_21rocsparse_index_base_PKT2_PKS1_S2_PS3_,@function
_ZN9rocsparseL46csr2bsr_nnz_wavefront_per_row_multipass_kernelILj256ELj32ELj8EliEEvT3_S1_S1_S1_S1_21rocsparse_index_base_PKT2_PKS1_S2_PS3_: ; @_ZN9rocsparseL46csr2bsr_nnz_wavefront_per_row_multipass_kernelILj256ELj32ELj8EliEEvT3_S1_S1_S1_S1_21rocsparse_index_base_PKT2_PKS1_S2_PS3_
; %bb.0:
	s_clause 0x1
	s_load_b128 s[4:7], s[0:1], 0x8
	s_load_b32 s2, s[0:1], 0x0
	v_lshrrev_b32_e32 v17, 5, v0
	v_bfe_u32 v6, v0, 2, 3
	s_load_b64 s[8:9], s[0:1], 0x18
	v_mov_b32_e32 v2, 0
	s_delay_alu instid0(VALU_DEP_3) | instskip(SKIP_2) | instid1(VALU_DEP_1)
	v_dual_mov_b32 v3, 0 :: v_dual_lshlrev_b32 v16, 2, v17
	v_lshl_or_b32 v1, s15, 3, v17
	s_waitcnt lgkmcnt(0)
	v_mad_u64_u32 v[4:5], null, v1, s6, v[6:7]
	v_mov_b32_e32 v5, 0
	ds_store_b32 v16, v5
	v_cmp_gt_i32_e32 vcc_lo, s2, v4
	v_cmp_gt_i32_e64 s2, s6, v6
	v_dual_mov_b32 v7, v3 :: v_dual_mov_b32 v6, v2
	s_waitcnt lgkmcnt(0)
	s_barrier
	s_delay_alu instid0(VALU_DEP_2)
	s_and_b32 s2, s2, vcc_lo
	buffer_gl0_inv
	s_and_saveexec_b32 s3, s2
	s_cbranch_execz .LBB15_2
; %bb.1:
	v_ashrrev_i32_e32 v5, 31, v4
	s_delay_alu instid0(VALU_DEP_1) | instskip(NEXT) | instid1(VALU_DEP_1)
	v_lshlrev_b64 v[5:6], 3, v[4:5]
	v_add_co_u32 v5, vcc_lo, s8, v5
	s_delay_alu instid0(VALU_DEP_2)
	v_add_co_ci_u32_e32 v6, vcc_lo, s9, v6, vcc_lo
	global_load_b64 v[6:7], v[5:6], off
	s_waitcnt vmcnt(0)
	v_sub_co_u32 v6, vcc_lo, v6, s7
	v_subrev_co_ci_u32_e32 v7, vcc_lo, 0, v7, vcc_lo
.LBB15_2:
	s_or_b32 exec_lo, exec_lo, s3
	s_and_saveexec_b32 s3, s2
	s_cbranch_execz .LBB15_4
; %bb.3:
	v_ashrrev_i32_e32 v5, 31, v4
	s_delay_alu instid0(VALU_DEP_1) | instskip(NEXT) | instid1(VALU_DEP_1)
	v_lshlrev_b64 v[2:3], 3, v[4:5]
	v_add_co_u32 v2, vcc_lo, s8, v2
	s_delay_alu instid0(VALU_DEP_2)
	v_add_co_ci_u32_e32 v3, vcc_lo, s9, v3, vcc_lo
	global_load_b64 v[2:3], v[2:3], off offset:8
	s_waitcnt vmcnt(0)
	v_sub_co_u32 v2, vcc_lo, v2, s7
	v_subrev_co_ci_u32_e32 v3, vcc_lo, 0, v3, vcc_lo
.LBB15_4:
	s_or_b32 exec_lo, exec_lo, s3
	v_and_b32_e32 v18, 31, v0
	s_cmp_lt_i32 s5, 1
	s_delay_alu instid0(VALU_DEP_1)
	v_cmp_eq_u32_e32 vcc_lo, 0, v18
	s_cbranch_scc1 .LBB15_18
; %bb.5:
	s_abs_i32 s10, s6
	v_mbcnt_lo_u32_b32 v8, -1, 0
	v_cvt_f32_u32_e32 v4, s10
	s_sub_i32 s2, 0, s10
	s_load_b64 s[8:9], s[0:1], 0x20
	v_dual_mov_b32 v19, 0 :: v_dual_and_b32 v0, 3, v0
	s_delay_alu instid0(VALU_DEP_2)
	v_rcp_iflag_f32_e32 v4, v4
	v_xor_b32_e32 v10, 2, v8
	v_xor_b32_e32 v11, 1, v8
	;; [unrolled: 1-line block ×5, first 2 shown]
	v_lshl_or_b32 v21, v8, 2, 12
	v_mov_b32_e32 v20, 0x7c
	s_mov_b32 s11, 0
	s_ashr_i32 s6, s6, 31
	v_dual_mul_f32 v9, 0x4f7ffffe, v4 :: v_dual_mov_b32 v4, 0
	v_dual_mov_b32 v5, 0 :: v_dual_mov_b32 v28, 1
	s_delay_alu instid0(VALU_DEP_2) | instskip(NEXT) | instid1(VALU_DEP_1)
	v_cvt_u32_f32_e32 v9, v9
	v_mul_lo_u32 v15, s2, v9
	v_cmp_gt_i32_e64 s2, 32, v10
	s_delay_alu instid0(VALU_DEP_1) | instskip(SKIP_1) | instid1(VALU_DEP_4)
	v_cndmask_b32_e64 v10, v8, v10, s2
	v_cmp_gt_i32_e64 s2, 32, v11
	v_mul_hi_u32 v15, v9, v15
	s_delay_alu instid0(VALU_DEP_3) | instskip(NEXT) | instid1(VALU_DEP_3)
	v_lshlrev_b32_e32 v22, 2, v10
	v_cndmask_b32_e64 v11, v8, v11, s2
	v_cmp_gt_i32_e64 s2, 32, v12
	s_delay_alu instid0(VALU_DEP_4) | instskip(NEXT) | instid1(VALU_DEP_3)
	v_add_nc_u32_e32 v27, v9, v15
	v_lshlrev_b32_e32 v23, 2, v11
	s_delay_alu instid0(VALU_DEP_3) | instskip(SKIP_1) | instid1(VALU_DEP_2)
	v_cndmask_b32_e64 v12, v8, v12, s2
	v_cmp_gt_i32_e64 s2, 32, v13
	v_lshlrev_b32_e32 v24, 2, v12
	s_delay_alu instid0(VALU_DEP_2) | instskip(SKIP_1) | instid1(VALU_DEP_2)
	v_cndmask_b32_e64 v13, v8, v13, s2
	v_cmp_gt_i32_e64 s2, 32, v14
	v_lshlrev_b32_e32 v25, 2, v13
	s_delay_alu instid0(VALU_DEP_2) | instskip(NEXT) | instid1(VALU_DEP_1)
	v_cndmask_b32_e64 v8, v8, v14, s2
	v_lshlrev_b32_e32 v26, 2, v8
	s_branch .LBB15_7
.LBB15_6:                               ;   in Loop: Header=BB15_7 Depth=1
	s_or_b32 exec_lo, exec_lo, s2
	ds_bpermute_b32 v4, v24, v29
	s_waitcnt lgkmcnt(0)
	buffer_gl0_inv
	v_min_i32_e32 v4, v4, v29
	ds_bpermute_b32 v5, v25, v4
	s_waitcnt lgkmcnt(0)
	v_min_i32_e32 v4, v5, v4
	ds_bpermute_b32 v5, v26, v4
	s_waitcnt lgkmcnt(0)
	;; [unrolled: 3-line block ×5, first 2 shown]
	v_cmp_le_i32_e64 s2, s5, v4
	v_ashrrev_i32_e32 v5, 31, v4
	s_delay_alu instid0(VALU_DEP_2) | instskip(NEXT) | instid1(SALU_CYCLE_1)
	s_or_b32 s11, s2, s11
	s_and_not1_b32 exec_lo, exec_lo, s11
	s_cbranch_execz .LBB15_17
.LBB15_7:                               ; =>This Loop Header: Depth=1
                                        ;     Child Loop BB15_10 Depth 2
	v_add_co_u32 v6, s2, v6, v0
	v_mov_b32_e32 v11, v3
	v_add_co_ci_u32_e64 v7, s2, 0, v7, s2
	v_dual_mov_b32 v29, s5 :: v_dual_mov_b32 v10, v2
	s_mov_b32 s12, exec_lo
	ds_store_b8 v17, v19 offset:32
	s_waitcnt lgkmcnt(0)
	buffer_gl0_inv
	v_cmpx_lt_i64_e64 v[6:7], v[2:3]
	s_cbranch_execz .LBB15_15
; %bb.8:                                ;   in Loop: Header=BB15_7 Depth=1
	v_lshlrev_b64 v[8:9], 2, v[6:7]
	v_mov_b32_e32 v11, v3
	v_dual_mov_b32 v29, s5 :: v_dual_mov_b32 v10, v2
	s_mov_b32 s13, 0
	s_delay_alu instid0(VALU_DEP_3) | instskip(NEXT) | instid1(VALU_DEP_1)
	v_add_co_u32 v8, s2, s8, v8
	v_add_co_ci_u32_e64 v9, s2, s9, v9, s2
	s_branch .LBB15_10
.LBB15_9:                               ;   in Loop: Header=BB15_10 Depth=2
	s_or_b32 exec_lo, exec_lo, s3
	v_add_co_u32 v6, s3, v6, 4
	s_delay_alu instid0(VALU_DEP_1) | instskip(SKIP_1) | instid1(VALU_DEP_1)
	v_add_co_ci_u32_e64 v7, s3, 0, v7, s3
	s_xor_b32 s2, s2, -1
	v_cmp_ge_i64_e64 s3, v[6:7], v[2:3]
	s_delay_alu instid0(VALU_DEP_1) | instskip(SKIP_1) | instid1(VALU_DEP_1)
	s_or_b32 s3, s2, s3
	v_add_co_u32 v8, s2, v8, 16
	v_add_co_ci_u32_e64 v9, s2, 0, v9, s2
	s_and_b32 s2, exec_lo, s3
	s_delay_alu instid0(SALU_CYCLE_1) | instskip(NEXT) | instid1(SALU_CYCLE_1)
	s_or_b32 s13, s2, s13
	s_and_not1_b32 exec_lo, exec_lo, s13
	s_cbranch_execz .LBB15_14
.LBB15_10:                              ;   Parent Loop BB15_7 Depth=1
                                        ; =>  This Inner Loop Header: Depth=2
	global_load_b32 v12, v[8:9], off
	s_waitcnt vmcnt(0)
	v_subrev_nc_u32_e32 v12, s7, v12
	s_delay_alu instid0(VALU_DEP_1) | instskip(NEXT) | instid1(VALU_DEP_1)
	v_sub_nc_u32_e32 v13, 0, v12
	v_max_i32_e32 v13, v12, v13
	v_ashrrev_i32_e32 v12, 31, v12
	s_delay_alu instid0(VALU_DEP_2) | instskip(NEXT) | instid1(VALU_DEP_2)
	v_mul_hi_u32 v14, v13, v27
	v_xor_b32_e32 v12, s6, v12
	s_delay_alu instid0(VALU_DEP_2) | instskip(NEXT) | instid1(VALU_DEP_1)
	v_mul_lo_u32 v15, v14, s10
	v_sub_nc_u32_e32 v13, v13, v15
	v_add_nc_u32_e32 v15, 1, v14
	s_delay_alu instid0(VALU_DEP_2) | instskip(SKIP_1) | instid1(VALU_DEP_1)
	v_subrev_nc_u32_e32 v30, s10, v13
	v_cmp_le_u32_e64 s2, s10, v13
	v_cndmask_b32_e64 v14, v14, v15, s2
	s_delay_alu instid0(VALU_DEP_3) | instskip(NEXT) | instid1(VALU_DEP_2)
	v_cndmask_b32_e64 v13, v13, v30, s2
	v_add_nc_u32_e32 v15, 1, v14
	s_delay_alu instid0(VALU_DEP_2) | instskip(NEXT) | instid1(VALU_DEP_1)
	v_cmp_le_u32_e64 s2, s10, v13
	v_cndmask_b32_e64 v13, v14, v15, s2
	s_delay_alu instid0(VALU_DEP_1) | instskip(NEXT) | instid1(VALU_DEP_1)
	v_xor_b32_e32 v13, v13, v12
	v_sub_nc_u32_e32 v14, v13, v12
	v_dual_mov_b32 v13, v11 :: v_dual_mov_b32 v12, v10
	s_delay_alu instid0(VALU_DEP_2) | instskip(NEXT) | instid1(VALU_DEP_1)
	v_ashrrev_i32_e32 v15, 31, v14
	v_cmp_eq_u64_e64 s2, v[4:5], v[14:15]
	v_cmp_ne_u64_e64 s3, v[4:5], v[14:15]
	s_delay_alu instid0(VALU_DEP_1) | instskip(NEXT) | instid1(SALU_CYCLE_1)
	s_and_saveexec_b32 s14, s3
	s_xor_b32 s3, exec_lo, s14
; %bb.11:                               ;   in Loop: Header=BB15_10 Depth=2
	v_min_i32_e32 v29, v14, v29
                                        ; implicit-def: $vgpr12_vgpr13
; %bb.12:                               ;   in Loop: Header=BB15_10 Depth=2
	s_or_saveexec_b32 s3, s3
	v_dual_mov_b32 v11, v7 :: v_dual_mov_b32 v10, v6
	s_xor_b32 exec_lo, exec_lo, s3
	s_cbranch_execz .LBB15_9
; %bb.13:                               ;   in Loop: Header=BB15_10 Depth=2
	v_dual_mov_b32 v10, v12 :: v_dual_mov_b32 v11, v13
	ds_store_b8 v17, v28 offset:32
	s_branch .LBB15_9
.LBB15_14:                              ;   in Loop: Header=BB15_7 Depth=1
	s_or_b32 exec_lo, exec_lo, s13
.LBB15_15:                              ;   in Loop: Header=BB15_7 Depth=1
	s_delay_alu instid0(SALU_CYCLE_1)
	s_or_b32 exec_lo, exec_lo, s12
	ds_bpermute_b32 v4, v22, v10
	ds_bpermute_b32 v5, v22, v11
	s_waitcnt lgkmcnt(0)
	buffer_gl0_inv
	ds_load_u8 v8, v17 offset:32
	v_cmp_lt_i64_e64 s2, v[4:5], v[10:11]
	s_delay_alu instid0(VALU_DEP_1)
	v_cndmask_b32_e64 v5, v11, v5, s2
	v_cndmask_b32_e64 v4, v10, v4, s2
	ds_bpermute_b32 v7, v23, v5
	ds_bpermute_b32 v6, v23, v4
	s_waitcnt lgkmcnt(0)
	v_cmp_lt_i64_e64 s2, v[6:7], v[4:5]
	s_delay_alu instid0(VALU_DEP_1) | instskip(SKIP_4) | instid1(VALU_DEP_1)
	v_cndmask_b32_e64 v5, v5, v7, s2
	v_cndmask_b32_e64 v4, v4, v6, s2
	ds_bpermute_b32 v7, v21, v5
	ds_bpermute_b32 v6, v21, v4
	v_and_b32_e32 v4, 1, v8
	v_cmp_eq_u32_e64 s2, 1, v4
	s_delay_alu instid0(VALU_DEP_1) | instskip(NEXT) | instid1(SALU_CYCLE_1)
	s_and_b32 s3, vcc_lo, s2
	s_and_saveexec_b32 s2, s3
	s_cbranch_execz .LBB15_6
; %bb.16:                               ;   in Loop: Header=BB15_7 Depth=1
	ds_load_b32 v4, v16
	s_waitcnt lgkmcnt(0)
	v_add_nc_u32_e32 v4, 1, v4
	ds_store_b32 v16, v4
	s_branch .LBB15_6
.LBB15_17:
	s_or_b32 exec_lo, exec_lo, s11
.LBB15_18:
	s_delay_alu instid0(SALU_CYCLE_1)
	s_mov_b32 s2, exec_lo
	v_cmpx_eq_u32_e32 0, v18
	s_cbranch_execz .LBB15_21
; %bb.19:
	s_clause 0x1
	s_load_b32 s2, s[0:1], 0x28
	s_load_b64 s[0:1], s[0:1], 0x30
	v_cmp_gt_u32_e32 vcc_lo, s4, v1
	s_waitcnt lgkmcnt(0)
	v_dual_mov_b32 v3, 0 :: v_dual_mov_b32 v2, s2
	global_store_b64 v3, v[2:3], s[0:1]
	s_and_b32 exec_lo, exec_lo, vcc_lo
	s_cbranch_execz .LBB15_21
; %bb.20:
	ds_load_b32 v0, v16
	v_mov_b32_e32 v2, v3
	s_delay_alu instid0(VALU_DEP_1) | instskip(NEXT) | instid1(VALU_DEP_1)
	v_lshlrev_b64 v[1:2], 3, v[1:2]
	v_add_co_u32 v3, vcc_lo, s0, v1
	s_delay_alu instid0(VALU_DEP_2)
	v_add_co_ci_u32_e32 v4, vcc_lo, s1, v2, vcc_lo
	s_waitcnt lgkmcnt(0)
	v_ashrrev_i32_e32 v1, 31, v0
	global_store_b64 v[3:4], v[0:1], off offset:8
.LBB15_21:
	s_nop 0
	s_sendmsg sendmsg(MSG_DEALLOC_VGPRS)
	s_endpgm
	.section	.rodata,"a",@progbits
	.p2align	6, 0x0
	.amdhsa_kernel _ZN9rocsparseL46csr2bsr_nnz_wavefront_per_row_multipass_kernelILj256ELj32ELj8EliEEvT3_S1_S1_S1_S1_21rocsparse_index_base_PKT2_PKS1_S2_PS3_
		.amdhsa_group_segment_fixed_size 40
		.amdhsa_private_segment_fixed_size 0
		.amdhsa_kernarg_size 56
		.amdhsa_user_sgpr_count 15
		.amdhsa_user_sgpr_dispatch_ptr 0
		.amdhsa_user_sgpr_queue_ptr 0
		.amdhsa_user_sgpr_kernarg_segment_ptr 1
		.amdhsa_user_sgpr_dispatch_id 0
		.amdhsa_user_sgpr_private_segment_size 0
		.amdhsa_wavefront_size32 1
		.amdhsa_uses_dynamic_stack 0
		.amdhsa_enable_private_segment 0
		.amdhsa_system_sgpr_workgroup_id_x 1
		.amdhsa_system_sgpr_workgroup_id_y 0
		.amdhsa_system_sgpr_workgroup_id_z 0
		.amdhsa_system_sgpr_workgroup_info 0
		.amdhsa_system_vgpr_workitem_id 0
		.amdhsa_next_free_vgpr 31
		.amdhsa_next_free_sgpr 16
		.amdhsa_reserve_vcc 1
		.amdhsa_float_round_mode_32 0
		.amdhsa_float_round_mode_16_64 0
		.amdhsa_float_denorm_mode_32 3
		.amdhsa_float_denorm_mode_16_64 3
		.amdhsa_dx10_clamp 1
		.amdhsa_ieee_mode 1
		.amdhsa_fp16_overflow 0
		.amdhsa_workgroup_processor_mode 1
		.amdhsa_memory_ordered 1
		.amdhsa_forward_progress 0
		.amdhsa_shared_vgpr_count 0
		.amdhsa_exception_fp_ieee_invalid_op 0
		.amdhsa_exception_fp_denorm_src 0
		.amdhsa_exception_fp_ieee_div_zero 0
		.amdhsa_exception_fp_ieee_overflow 0
		.amdhsa_exception_fp_ieee_underflow 0
		.amdhsa_exception_fp_ieee_inexact 0
		.amdhsa_exception_int_div_zero 0
	.end_amdhsa_kernel
	.section	.text._ZN9rocsparseL46csr2bsr_nnz_wavefront_per_row_multipass_kernelILj256ELj32ELj8EliEEvT3_S1_S1_S1_S1_21rocsparse_index_base_PKT2_PKS1_S2_PS3_,"axG",@progbits,_ZN9rocsparseL46csr2bsr_nnz_wavefront_per_row_multipass_kernelILj256ELj32ELj8EliEEvT3_S1_S1_S1_S1_21rocsparse_index_base_PKT2_PKS1_S2_PS3_,comdat
.Lfunc_end15:
	.size	_ZN9rocsparseL46csr2bsr_nnz_wavefront_per_row_multipass_kernelILj256ELj32ELj8EliEEvT3_S1_S1_S1_S1_21rocsparse_index_base_PKT2_PKS1_S2_PS3_, .Lfunc_end15-_ZN9rocsparseL46csr2bsr_nnz_wavefront_per_row_multipass_kernelILj256ELj32ELj8EliEEvT3_S1_S1_S1_S1_21rocsparse_index_base_PKT2_PKS1_S2_PS3_
                                        ; -- End function
	.section	.AMDGPU.csdata,"",@progbits
; Kernel info:
; codeLenInByte = 1440
; NumSgprs: 18
; NumVgprs: 31
; ScratchSize: 0
; MemoryBound: 0
; FloatMode: 240
; IeeeMode: 1
; LDSByteSize: 40 bytes/workgroup (compile time only)
; SGPRBlocks: 2
; VGPRBlocks: 3
; NumSGPRsForWavesPerEU: 18
; NumVGPRsForWavesPerEU: 31
; Occupancy: 16
; WaveLimiterHint : 0
; COMPUTE_PGM_RSRC2:SCRATCH_EN: 0
; COMPUTE_PGM_RSRC2:USER_SGPR: 15
; COMPUTE_PGM_RSRC2:TRAP_HANDLER: 0
; COMPUTE_PGM_RSRC2:TGID_X_EN: 1
; COMPUTE_PGM_RSRC2:TGID_Y_EN: 0
; COMPUTE_PGM_RSRC2:TGID_Z_EN: 0
; COMPUTE_PGM_RSRC2:TIDIG_COMP_CNT: 0
	.section	.text._ZN9rocsparseL46csr2bsr_nnz_wavefront_per_row_multipass_kernelILj256ELj64ELj16EliEEvT3_S1_S1_S1_S1_21rocsparse_index_base_PKT2_PKS1_S2_PS3_,"axG",@progbits,_ZN9rocsparseL46csr2bsr_nnz_wavefront_per_row_multipass_kernelILj256ELj64ELj16EliEEvT3_S1_S1_S1_S1_21rocsparse_index_base_PKT2_PKS1_S2_PS3_,comdat
	.globl	_ZN9rocsparseL46csr2bsr_nnz_wavefront_per_row_multipass_kernelILj256ELj64ELj16EliEEvT3_S1_S1_S1_S1_21rocsparse_index_base_PKT2_PKS1_S2_PS3_ ; -- Begin function _ZN9rocsparseL46csr2bsr_nnz_wavefront_per_row_multipass_kernelILj256ELj64ELj16EliEEvT3_S1_S1_S1_S1_21rocsparse_index_base_PKT2_PKS1_S2_PS3_
	.p2align	8
	.type	_ZN9rocsparseL46csr2bsr_nnz_wavefront_per_row_multipass_kernelILj256ELj64ELj16EliEEvT3_S1_S1_S1_S1_21rocsparse_index_base_PKT2_PKS1_S2_PS3_,@function
_ZN9rocsparseL46csr2bsr_nnz_wavefront_per_row_multipass_kernelILj256ELj64ELj16EliEEvT3_S1_S1_S1_S1_21rocsparse_index_base_PKT2_PKS1_S2_PS3_: ; @_ZN9rocsparseL46csr2bsr_nnz_wavefront_per_row_multipass_kernelILj256ELj64ELj16EliEEvT3_S1_S1_S1_S1_21rocsparse_index_base_PKT2_PKS1_S2_PS3_
; %bb.0:
	s_clause 0x1
	s_load_b128 s[4:7], s[0:1], 0x8
	s_load_b32 s2, s[0:1], 0x0
	v_lshrrev_b32_e32 v17, 6, v0
	v_bfe_u32 v6, v0, 2, 4
	s_load_b64 s[8:9], s[0:1], 0x18
	v_mov_b32_e32 v2, 0
	s_delay_alu instid0(VALU_DEP_3) | instskip(SKIP_2) | instid1(VALU_DEP_1)
	v_dual_mov_b32 v3, 0 :: v_dual_lshlrev_b32 v16, 2, v17
	v_lshl_or_b32 v1, s15, 2, v17
	s_waitcnt lgkmcnt(0)
	v_mad_u64_u32 v[4:5], null, v1, s6, v[6:7]
	v_mov_b32_e32 v5, 0
	ds_store_b32 v16, v5
	v_cmp_gt_i32_e32 vcc_lo, s2, v4
	v_cmp_gt_i32_e64 s2, s6, v6
	v_dual_mov_b32 v7, v3 :: v_dual_mov_b32 v6, v2
	s_waitcnt lgkmcnt(0)
	s_barrier
	s_delay_alu instid0(VALU_DEP_2)
	s_and_b32 s2, s2, vcc_lo
	buffer_gl0_inv
	s_and_saveexec_b32 s3, s2
	s_cbranch_execz .LBB16_2
; %bb.1:
	v_ashrrev_i32_e32 v5, 31, v4
	s_delay_alu instid0(VALU_DEP_1) | instskip(NEXT) | instid1(VALU_DEP_1)
	v_lshlrev_b64 v[5:6], 3, v[4:5]
	v_add_co_u32 v5, vcc_lo, s8, v5
	s_delay_alu instid0(VALU_DEP_2)
	v_add_co_ci_u32_e32 v6, vcc_lo, s9, v6, vcc_lo
	global_load_b64 v[6:7], v[5:6], off
	s_waitcnt vmcnt(0)
	v_sub_co_u32 v6, vcc_lo, v6, s7
	v_subrev_co_ci_u32_e32 v7, vcc_lo, 0, v7, vcc_lo
.LBB16_2:
	s_or_b32 exec_lo, exec_lo, s3
	s_and_saveexec_b32 s3, s2
	s_cbranch_execz .LBB16_4
; %bb.3:
	v_ashrrev_i32_e32 v5, 31, v4
	s_delay_alu instid0(VALU_DEP_1) | instskip(NEXT) | instid1(VALU_DEP_1)
	v_lshlrev_b64 v[2:3], 3, v[4:5]
	v_add_co_u32 v2, vcc_lo, s8, v2
	s_delay_alu instid0(VALU_DEP_2)
	v_add_co_ci_u32_e32 v3, vcc_lo, s9, v3, vcc_lo
	global_load_b64 v[2:3], v[2:3], off offset:8
	s_waitcnt vmcnt(0)
	v_sub_co_u32 v2, vcc_lo, v2, s7
	v_subrev_co_ci_u32_e32 v3, vcc_lo, 0, v3, vcc_lo
.LBB16_4:
	s_or_b32 exec_lo, exec_lo, s3
	v_and_b32_e32 v18, 63, v0
	s_cmp_lt_i32 s5, 1
	s_delay_alu instid0(VALU_DEP_1)
	v_cmp_eq_u32_e32 vcc_lo, 0, v18
	s_cbranch_scc1 .LBB16_18
; %bb.5:
	v_mbcnt_lo_u32_b32 v9, -1, 0
	s_abs_i32 s10, s6
	s_load_b64 s[8:9], s[0:1], 0x20
	v_cvt_f32_u32_e32 v4, s10
	s_sub_i32 s3, 0, s10
	v_xor_b32_e32 v10, 2, v9
	v_xor_b32_e32 v11, 1, v9
	v_or_b32_e32 v12, 32, v9
	v_rcp_iflag_f32_e32 v8, v4
	v_xor_b32_e32 v13, 16, v9
	v_cmp_gt_i32_e64 s2, 32, v10
	v_xor_b32_e32 v14, 8, v9
	v_xor_b32_e32 v15, 4, v9
	v_lshl_or_b32 v21, v9, 2, 12
	v_dual_mov_b32 v19, 0 :: v_dual_and_b32 v0, 3, v0
	v_cndmask_b32_e64 v10, v9, v10, s2
	v_cmp_gt_i32_e64 s2, 32, v11
	v_bfrev_b32_e32 v20, 0.5
	s_mov_b32 s11, 0
	s_ashr_i32 s6, s6, 31
	v_mul_f32_e32 v8, 0x4f7ffffe, v8
	v_cndmask_b32_e64 v11, v9, v11, s2
	v_mov_b32_e32 v4, 0
	v_mov_b32_e32 v5, 0
	v_cmp_gt_i32_e64 s2, 32, v12
	v_cvt_u32_f32_e32 v8, v8
	v_lshlrev_b32_e32 v23, 2, v11
	v_mov_b32_e32 v29, 1
	s_delay_alu instid0(VALU_DEP_4) | instskip(SKIP_2) | instid1(VALU_DEP_3)
	v_cndmask_b32_e64 v12, v9, v12, s2
	v_cmp_gt_i32_e64 s2, 32, v13
	v_mul_lo_u32 v22, s3, v8
	v_lshlrev_b32_e32 v24, 2, v12
	s_delay_alu instid0(VALU_DEP_3) | instskip(SKIP_1) | instid1(VALU_DEP_4)
	v_cndmask_b32_e64 v13, v9, v13, s2
	v_cmp_gt_i32_e64 s2, 32, v14
	v_mul_hi_u32 v28, v8, v22
	v_lshlrev_b32_e32 v22, 2, v10
	s_delay_alu instid0(VALU_DEP_3) | instskip(SKIP_2) | instid1(VALU_DEP_3)
	v_cndmask_b32_e64 v14, v9, v14, s2
	v_cmp_gt_i32_e64 s2, 32, v15
	v_lshlrev_b32_e32 v25, 2, v13
	v_lshlrev_b32_e32 v26, 2, v14
	s_delay_alu instid0(VALU_DEP_3) | instskip(SKIP_1) | instid1(VALU_DEP_2)
	v_cndmask_b32_e64 v9, v9, v15, s2
	v_add_nc_u32_e32 v28, v8, v28
	v_lshlrev_b32_e32 v27, 2, v9
	s_branch .LBB16_7
.LBB16_6:                               ;   in Loop: Header=BB16_7 Depth=1
	s_or_b32 exec_lo, exec_lo, s2
	ds_bpermute_b32 v4, v24, v30
	s_waitcnt lgkmcnt(0)
	buffer_gl0_inv
	v_min_i32_e32 v4, v4, v30
	ds_bpermute_b32 v5, v25, v4
	s_waitcnt lgkmcnt(0)
	v_min_i32_e32 v4, v5, v4
	ds_bpermute_b32 v5, v26, v4
	s_waitcnt lgkmcnt(0)
	;; [unrolled: 3-line block ×6, first 2 shown]
	v_cmp_le_i32_e64 s2, s5, v4
	v_ashrrev_i32_e32 v5, 31, v4
	s_delay_alu instid0(VALU_DEP_2) | instskip(NEXT) | instid1(SALU_CYCLE_1)
	s_or_b32 s11, s2, s11
	s_and_not1_b32 exec_lo, exec_lo, s11
	s_cbranch_execz .LBB16_17
.LBB16_7:                               ; =>This Loop Header: Depth=1
                                        ;     Child Loop BB16_10 Depth 2
	v_add_co_u32 v6, s2, v6, v0
	v_dual_mov_b32 v30, s5 :: v_dual_mov_b32 v11, v3
	v_add_co_ci_u32_e64 v7, s2, 0, v7, s2
	v_mov_b32_e32 v10, v2
	s_mov_b32 s12, exec_lo
	ds_store_b8 v17, v19 offset:16
	s_waitcnt lgkmcnt(0)
	buffer_gl0_inv
	v_cmpx_lt_i64_e64 v[6:7], v[2:3]
	s_cbranch_execz .LBB16_15
; %bb.8:                                ;   in Loop: Header=BB16_7 Depth=1
	v_lshlrev_b64 v[8:9], 2, v[6:7]
	v_dual_mov_b32 v30, s5 :: v_dual_mov_b32 v11, v3
	v_mov_b32_e32 v10, v2
	s_mov_b32 s13, 0
	s_delay_alu instid0(VALU_DEP_3) | instskip(NEXT) | instid1(VALU_DEP_1)
	v_add_co_u32 v8, s2, s8, v8
	v_add_co_ci_u32_e64 v9, s2, s9, v9, s2
	s_branch .LBB16_10
.LBB16_9:                               ;   in Loop: Header=BB16_10 Depth=2
	s_or_b32 exec_lo, exec_lo, s3
	v_add_co_u32 v6, s3, v6, 4
	s_delay_alu instid0(VALU_DEP_1) | instskip(SKIP_1) | instid1(VALU_DEP_1)
	v_add_co_ci_u32_e64 v7, s3, 0, v7, s3
	s_xor_b32 s2, s2, -1
	v_cmp_ge_i64_e64 s3, v[6:7], v[2:3]
	s_delay_alu instid0(VALU_DEP_1) | instskip(SKIP_1) | instid1(VALU_DEP_1)
	s_or_b32 s3, s2, s3
	v_add_co_u32 v8, s2, v8, 16
	v_add_co_ci_u32_e64 v9, s2, 0, v9, s2
	s_and_b32 s2, exec_lo, s3
	s_delay_alu instid0(SALU_CYCLE_1) | instskip(NEXT) | instid1(SALU_CYCLE_1)
	s_or_b32 s13, s2, s13
	s_and_not1_b32 exec_lo, exec_lo, s13
	s_cbranch_execz .LBB16_14
.LBB16_10:                              ;   Parent Loop BB16_7 Depth=1
                                        ; =>  This Inner Loop Header: Depth=2
	global_load_b32 v12, v[8:9], off
	s_waitcnt vmcnt(0)
	v_subrev_nc_u32_e32 v12, s7, v12
	s_delay_alu instid0(VALU_DEP_1) | instskip(NEXT) | instid1(VALU_DEP_1)
	v_sub_nc_u32_e32 v13, 0, v12
	v_max_i32_e32 v13, v12, v13
	v_ashrrev_i32_e32 v12, 31, v12
	s_delay_alu instid0(VALU_DEP_2) | instskip(NEXT) | instid1(VALU_DEP_2)
	v_mul_hi_u32 v14, v13, v28
	v_xor_b32_e32 v12, s6, v12
	s_delay_alu instid0(VALU_DEP_2) | instskip(NEXT) | instid1(VALU_DEP_1)
	v_mul_lo_u32 v15, v14, s10
	v_sub_nc_u32_e32 v13, v13, v15
	v_add_nc_u32_e32 v15, 1, v14
	s_delay_alu instid0(VALU_DEP_2) | instskip(SKIP_1) | instid1(VALU_DEP_1)
	v_subrev_nc_u32_e32 v31, s10, v13
	v_cmp_le_u32_e64 s2, s10, v13
	v_cndmask_b32_e64 v14, v14, v15, s2
	s_delay_alu instid0(VALU_DEP_3) | instskip(NEXT) | instid1(VALU_DEP_2)
	v_cndmask_b32_e64 v13, v13, v31, s2
	v_add_nc_u32_e32 v15, 1, v14
	s_delay_alu instid0(VALU_DEP_2) | instskip(NEXT) | instid1(VALU_DEP_1)
	v_cmp_le_u32_e64 s2, s10, v13
	v_cndmask_b32_e64 v13, v14, v15, s2
	s_delay_alu instid0(VALU_DEP_1) | instskip(NEXT) | instid1(VALU_DEP_1)
	v_xor_b32_e32 v13, v13, v12
	v_sub_nc_u32_e32 v14, v13, v12
	v_dual_mov_b32 v13, v11 :: v_dual_mov_b32 v12, v10
	s_delay_alu instid0(VALU_DEP_2) | instskip(NEXT) | instid1(VALU_DEP_1)
	v_ashrrev_i32_e32 v15, 31, v14
	v_cmp_eq_u64_e64 s2, v[4:5], v[14:15]
	v_cmp_ne_u64_e64 s3, v[4:5], v[14:15]
	s_delay_alu instid0(VALU_DEP_1) | instskip(NEXT) | instid1(SALU_CYCLE_1)
	s_and_saveexec_b32 s14, s3
	s_xor_b32 s3, exec_lo, s14
; %bb.11:                               ;   in Loop: Header=BB16_10 Depth=2
	v_min_i32_e32 v30, v14, v30
                                        ; implicit-def: $vgpr12_vgpr13
; %bb.12:                               ;   in Loop: Header=BB16_10 Depth=2
	s_or_saveexec_b32 s3, s3
	v_dual_mov_b32 v11, v7 :: v_dual_mov_b32 v10, v6
	s_xor_b32 exec_lo, exec_lo, s3
	s_cbranch_execz .LBB16_9
; %bb.13:                               ;   in Loop: Header=BB16_10 Depth=2
	v_dual_mov_b32 v10, v12 :: v_dual_mov_b32 v11, v13
	ds_store_b8 v17, v29 offset:16
	s_branch .LBB16_9
.LBB16_14:                              ;   in Loop: Header=BB16_7 Depth=1
	s_or_b32 exec_lo, exec_lo, s13
.LBB16_15:                              ;   in Loop: Header=BB16_7 Depth=1
	s_delay_alu instid0(SALU_CYCLE_1)
	s_or_b32 exec_lo, exec_lo, s12
	ds_bpermute_b32 v4, v22, v10
	ds_bpermute_b32 v5, v22, v11
	s_waitcnt lgkmcnt(0)
	buffer_gl0_inv
	ds_load_u8 v8, v17 offset:16
	v_cmp_lt_i64_e64 s2, v[4:5], v[10:11]
	s_delay_alu instid0(VALU_DEP_1)
	v_cndmask_b32_e64 v5, v11, v5, s2
	v_cndmask_b32_e64 v4, v10, v4, s2
	ds_bpermute_b32 v7, v23, v5
	ds_bpermute_b32 v6, v23, v4
	s_waitcnt lgkmcnt(0)
	v_cmp_lt_i64_e64 s2, v[6:7], v[4:5]
	s_delay_alu instid0(VALU_DEP_1) | instskip(SKIP_4) | instid1(VALU_DEP_1)
	v_cndmask_b32_e64 v5, v5, v7, s2
	v_cndmask_b32_e64 v4, v4, v6, s2
	ds_bpermute_b32 v7, v21, v5
	ds_bpermute_b32 v6, v21, v4
	v_and_b32_e32 v4, 1, v8
	v_cmp_eq_u32_e64 s2, 1, v4
	s_delay_alu instid0(VALU_DEP_1) | instskip(NEXT) | instid1(SALU_CYCLE_1)
	s_and_b32 s3, vcc_lo, s2
	s_and_saveexec_b32 s2, s3
	s_cbranch_execz .LBB16_6
; %bb.16:                               ;   in Loop: Header=BB16_7 Depth=1
	ds_load_b32 v4, v16
	s_waitcnt lgkmcnt(0)
	v_add_nc_u32_e32 v4, 1, v4
	ds_store_b32 v16, v4
	s_branch .LBB16_6
.LBB16_17:
	s_or_b32 exec_lo, exec_lo, s11
.LBB16_18:
	s_delay_alu instid0(SALU_CYCLE_1)
	s_mov_b32 s2, exec_lo
	v_cmpx_eq_u32_e32 0, v18
	s_cbranch_execz .LBB16_21
; %bb.19:
	s_clause 0x1
	s_load_b32 s2, s[0:1], 0x28
	s_load_b64 s[0:1], s[0:1], 0x30
	v_cmp_gt_u32_e32 vcc_lo, s4, v1
	s_waitcnt lgkmcnt(0)
	v_dual_mov_b32 v3, 0 :: v_dual_mov_b32 v2, s2
	global_store_b64 v3, v[2:3], s[0:1]
	s_and_b32 exec_lo, exec_lo, vcc_lo
	s_cbranch_execz .LBB16_21
; %bb.20:
	ds_load_b32 v0, v16
	v_mov_b32_e32 v2, v3
	s_delay_alu instid0(VALU_DEP_1) | instskip(NEXT) | instid1(VALU_DEP_1)
	v_lshlrev_b64 v[1:2], 3, v[1:2]
	v_add_co_u32 v3, vcc_lo, s0, v1
	s_delay_alu instid0(VALU_DEP_2)
	v_add_co_ci_u32_e32 v4, vcc_lo, s1, v2, vcc_lo
	s_waitcnt lgkmcnt(0)
	v_ashrrev_i32_e32 v1, 31, v0
	global_store_b64 v[3:4], v[0:1], off offset:8
.LBB16_21:
	s_nop 0
	s_sendmsg sendmsg(MSG_DEALLOC_VGPRS)
	s_endpgm
	.section	.rodata,"a",@progbits
	.p2align	6, 0x0
	.amdhsa_kernel _ZN9rocsparseL46csr2bsr_nnz_wavefront_per_row_multipass_kernelILj256ELj64ELj16EliEEvT3_S1_S1_S1_S1_21rocsparse_index_base_PKT2_PKS1_S2_PS3_
		.amdhsa_group_segment_fixed_size 20
		.amdhsa_private_segment_fixed_size 0
		.amdhsa_kernarg_size 56
		.amdhsa_user_sgpr_count 15
		.amdhsa_user_sgpr_dispatch_ptr 0
		.amdhsa_user_sgpr_queue_ptr 0
		.amdhsa_user_sgpr_kernarg_segment_ptr 1
		.amdhsa_user_sgpr_dispatch_id 0
		.amdhsa_user_sgpr_private_segment_size 0
		.amdhsa_wavefront_size32 1
		.amdhsa_uses_dynamic_stack 0
		.amdhsa_enable_private_segment 0
		.amdhsa_system_sgpr_workgroup_id_x 1
		.amdhsa_system_sgpr_workgroup_id_y 0
		.amdhsa_system_sgpr_workgroup_id_z 0
		.amdhsa_system_sgpr_workgroup_info 0
		.amdhsa_system_vgpr_workitem_id 0
		.amdhsa_next_free_vgpr 32
		.amdhsa_next_free_sgpr 16
		.amdhsa_reserve_vcc 1
		.amdhsa_float_round_mode_32 0
		.amdhsa_float_round_mode_16_64 0
		.amdhsa_float_denorm_mode_32 3
		.amdhsa_float_denorm_mode_16_64 3
		.amdhsa_dx10_clamp 1
		.amdhsa_ieee_mode 1
		.amdhsa_fp16_overflow 0
		.amdhsa_workgroup_processor_mode 1
		.amdhsa_memory_ordered 1
		.amdhsa_forward_progress 0
		.amdhsa_shared_vgpr_count 0
		.amdhsa_exception_fp_ieee_invalid_op 0
		.amdhsa_exception_fp_denorm_src 0
		.amdhsa_exception_fp_ieee_div_zero 0
		.amdhsa_exception_fp_ieee_overflow 0
		.amdhsa_exception_fp_ieee_underflow 0
		.amdhsa_exception_fp_ieee_inexact 0
		.amdhsa_exception_int_div_zero 0
	.end_amdhsa_kernel
	.section	.text._ZN9rocsparseL46csr2bsr_nnz_wavefront_per_row_multipass_kernelILj256ELj64ELj16EliEEvT3_S1_S1_S1_S1_21rocsparse_index_base_PKT2_PKS1_S2_PS3_,"axG",@progbits,_ZN9rocsparseL46csr2bsr_nnz_wavefront_per_row_multipass_kernelILj256ELj64ELj16EliEEvT3_S1_S1_S1_S1_21rocsparse_index_base_PKT2_PKS1_S2_PS3_,comdat
.Lfunc_end16:
	.size	_ZN9rocsparseL46csr2bsr_nnz_wavefront_per_row_multipass_kernelILj256ELj64ELj16EliEEvT3_S1_S1_S1_S1_21rocsparse_index_base_PKT2_PKS1_S2_PS3_, .Lfunc_end16-_ZN9rocsparseL46csr2bsr_nnz_wavefront_per_row_multipass_kernelILj256ELj64ELj16EliEEvT3_S1_S1_S1_S1_21rocsparse_index_base_PKT2_PKS1_S2_PS3_
                                        ; -- End function
	.section	.AMDGPU.csdata,"",@progbits
; Kernel info:
; codeLenInByte = 1460
; NumSgprs: 18
; NumVgprs: 32
; ScratchSize: 0
; MemoryBound: 0
; FloatMode: 240
; IeeeMode: 1
; LDSByteSize: 20 bytes/workgroup (compile time only)
; SGPRBlocks: 2
; VGPRBlocks: 3
; NumSGPRsForWavesPerEU: 18
; NumVGPRsForWavesPerEU: 32
; Occupancy: 16
; WaveLimiterHint : 0
; COMPUTE_PGM_RSRC2:SCRATCH_EN: 0
; COMPUTE_PGM_RSRC2:USER_SGPR: 15
; COMPUTE_PGM_RSRC2:TRAP_HANDLER: 0
; COMPUTE_PGM_RSRC2:TGID_X_EN: 1
; COMPUTE_PGM_RSRC2:TGID_Y_EN: 0
; COMPUTE_PGM_RSRC2:TGID_Z_EN: 0
; COMPUTE_PGM_RSRC2:TIDIG_COMP_CNT: 0
	.section	.text._ZN9rocsparseL46csr2bsr_nnz_wavefront_per_row_multipass_kernelILj256ELj32ELj16EliEEvT3_S1_S1_S1_S1_21rocsparse_index_base_PKT2_PKS1_S2_PS3_,"axG",@progbits,_ZN9rocsparseL46csr2bsr_nnz_wavefront_per_row_multipass_kernelILj256ELj32ELj16EliEEvT3_S1_S1_S1_S1_21rocsparse_index_base_PKT2_PKS1_S2_PS3_,comdat
	.globl	_ZN9rocsparseL46csr2bsr_nnz_wavefront_per_row_multipass_kernelILj256ELj32ELj16EliEEvT3_S1_S1_S1_S1_21rocsparse_index_base_PKT2_PKS1_S2_PS3_ ; -- Begin function _ZN9rocsparseL46csr2bsr_nnz_wavefront_per_row_multipass_kernelILj256ELj32ELj16EliEEvT3_S1_S1_S1_S1_21rocsparse_index_base_PKT2_PKS1_S2_PS3_
	.p2align	8
	.type	_ZN9rocsparseL46csr2bsr_nnz_wavefront_per_row_multipass_kernelILj256ELj32ELj16EliEEvT3_S1_S1_S1_S1_21rocsparse_index_base_PKT2_PKS1_S2_PS3_,@function
_ZN9rocsparseL46csr2bsr_nnz_wavefront_per_row_multipass_kernelILj256ELj32ELj16EliEEvT3_S1_S1_S1_S1_21rocsparse_index_base_PKT2_PKS1_S2_PS3_: ; @_ZN9rocsparseL46csr2bsr_nnz_wavefront_per_row_multipass_kernelILj256ELj32ELj16EliEEvT3_S1_S1_S1_S1_21rocsparse_index_base_PKT2_PKS1_S2_PS3_
; %bb.0:
	s_clause 0x1
	s_load_b128 s[4:7], s[0:1], 0x8
	s_load_b32 s2, s[0:1], 0x0
	v_lshrrev_b32_e32 v17, 5, v0
	v_bfe_u32 v6, v0, 1, 4
	s_load_b64 s[8:9], s[0:1], 0x18
	v_mov_b32_e32 v2, 0
	s_delay_alu instid0(VALU_DEP_3) | instskip(SKIP_2) | instid1(VALU_DEP_1)
	v_dual_mov_b32 v3, 0 :: v_dual_lshlrev_b32 v16, 2, v17
	v_lshl_or_b32 v1, s15, 3, v17
	s_waitcnt lgkmcnt(0)
	v_mad_u64_u32 v[4:5], null, v1, s6, v[6:7]
	v_mov_b32_e32 v5, 0
	ds_store_b32 v16, v5
	v_cmp_gt_i32_e32 vcc_lo, s2, v4
	v_cmp_gt_i32_e64 s2, s6, v6
	v_dual_mov_b32 v7, v3 :: v_dual_mov_b32 v6, v2
	s_waitcnt lgkmcnt(0)
	s_barrier
	s_delay_alu instid0(VALU_DEP_2)
	s_and_b32 s2, s2, vcc_lo
	buffer_gl0_inv
	s_and_saveexec_b32 s3, s2
	s_cbranch_execz .LBB17_2
; %bb.1:
	v_ashrrev_i32_e32 v5, 31, v4
	s_delay_alu instid0(VALU_DEP_1) | instskip(NEXT) | instid1(VALU_DEP_1)
	v_lshlrev_b64 v[5:6], 3, v[4:5]
	v_add_co_u32 v5, vcc_lo, s8, v5
	s_delay_alu instid0(VALU_DEP_2)
	v_add_co_ci_u32_e32 v6, vcc_lo, s9, v6, vcc_lo
	global_load_b64 v[6:7], v[5:6], off
	s_waitcnt vmcnt(0)
	v_sub_co_u32 v6, vcc_lo, v6, s7
	v_subrev_co_ci_u32_e32 v7, vcc_lo, 0, v7, vcc_lo
.LBB17_2:
	s_or_b32 exec_lo, exec_lo, s3
	s_and_saveexec_b32 s3, s2
	s_cbranch_execz .LBB17_4
; %bb.3:
	v_ashrrev_i32_e32 v5, 31, v4
	s_delay_alu instid0(VALU_DEP_1) | instskip(NEXT) | instid1(VALU_DEP_1)
	v_lshlrev_b64 v[2:3], 3, v[4:5]
	v_add_co_u32 v2, vcc_lo, s8, v2
	s_delay_alu instid0(VALU_DEP_2)
	v_add_co_ci_u32_e32 v3, vcc_lo, s9, v3, vcc_lo
	global_load_b64 v[2:3], v[2:3], off offset:8
	s_waitcnt vmcnt(0)
	v_sub_co_u32 v2, vcc_lo, v2, s7
	v_subrev_co_ci_u32_e32 v3, vcc_lo, 0, v3, vcc_lo
.LBB17_4:
	s_or_b32 exec_lo, exec_lo, s3
	v_and_b32_e32 v18, 31, v0
	s_cmp_lt_i32 s5, 1
	s_delay_alu instid0(VALU_DEP_1)
	v_cmp_eq_u32_e32 vcc_lo, 0, v18
	s_cbranch_scc1 .LBB17_18
; %bb.5:
	s_abs_i32 s10, s6
	v_mbcnt_lo_u32_b32 v8, -1, 0
	v_cvt_f32_u32_e32 v4, s10
	s_sub_i32 s2, 0, s10
	s_load_b64 s[8:9], s[0:1], 0x20
	v_dual_mov_b32 v19, 0 :: v_dual_and_b32 v0, 1, v0
	s_delay_alu instid0(VALU_DEP_2)
	v_rcp_iflag_f32_e32 v4, v4
	v_xor_b32_e32 v10, 1, v8
	v_xor_b32_e32 v11, 16, v8
	;; [unrolled: 1-line block ×5, first 2 shown]
	v_lshl_or_b32 v21, v8, 2, 4
	v_mov_b32_e32 v20, 0x7c
	s_mov_b32 s11, 0
	s_ashr_i32 s6, s6, 31
	v_dual_mul_f32 v9, 0x4f7ffffe, v4 :: v_dual_mov_b32 v4, 0
	v_dual_mov_b32 v5, 0 :: v_dual_mov_b32 v28, 1
	s_delay_alu instid0(VALU_DEP_2) | instskip(NEXT) | instid1(VALU_DEP_1)
	v_cvt_u32_f32_e32 v9, v9
	v_mul_lo_u32 v15, s2, v9
	v_cmp_gt_i32_e64 s2, 32, v10
	s_delay_alu instid0(VALU_DEP_1) | instskip(SKIP_1) | instid1(VALU_DEP_4)
	v_cndmask_b32_e64 v10, v8, v10, s2
	v_cmp_gt_i32_e64 s2, 32, v11
	v_mul_hi_u32 v15, v9, v15
	s_delay_alu instid0(VALU_DEP_3) | instskip(NEXT) | instid1(VALU_DEP_3)
	v_lshlrev_b32_e32 v22, 2, v10
	v_cndmask_b32_e64 v11, v8, v11, s2
	v_cmp_gt_i32_e64 s2, 32, v12
	s_delay_alu instid0(VALU_DEP_4) | instskip(NEXT) | instid1(VALU_DEP_3)
	v_add_nc_u32_e32 v27, v9, v15
	v_lshlrev_b32_e32 v23, 2, v11
	s_delay_alu instid0(VALU_DEP_3) | instskip(SKIP_1) | instid1(VALU_DEP_2)
	v_cndmask_b32_e64 v12, v8, v12, s2
	v_cmp_gt_i32_e64 s2, 32, v13
	v_lshlrev_b32_e32 v24, 2, v12
	s_delay_alu instid0(VALU_DEP_2) | instskip(SKIP_1) | instid1(VALU_DEP_2)
	v_cndmask_b32_e64 v13, v8, v13, s2
	v_cmp_gt_i32_e64 s2, 32, v14
	v_lshlrev_b32_e32 v25, 2, v13
	s_delay_alu instid0(VALU_DEP_2) | instskip(NEXT) | instid1(VALU_DEP_1)
	v_cndmask_b32_e64 v8, v8, v14, s2
	v_lshlrev_b32_e32 v26, 2, v8
	s_branch .LBB17_7
.LBB17_6:                               ;   in Loop: Header=BB17_7 Depth=1
	s_or_b32 exec_lo, exec_lo, s2
	ds_bpermute_b32 v4, v23, v29
	s_waitcnt lgkmcnt(0)
	buffer_gl0_inv
	v_min_i32_e32 v4, v4, v29
	ds_bpermute_b32 v5, v24, v4
	s_waitcnt lgkmcnt(0)
	v_min_i32_e32 v4, v5, v4
	ds_bpermute_b32 v5, v25, v4
	s_waitcnt lgkmcnt(0)
	;; [unrolled: 3-line block ×5, first 2 shown]
	v_cmp_le_i32_e64 s2, s5, v4
	v_ashrrev_i32_e32 v5, 31, v4
	s_delay_alu instid0(VALU_DEP_2) | instskip(NEXT) | instid1(SALU_CYCLE_1)
	s_or_b32 s11, s2, s11
	s_and_not1_b32 exec_lo, exec_lo, s11
	s_cbranch_execz .LBB17_17
.LBB17_7:                               ; =>This Loop Header: Depth=1
                                        ;     Child Loop BB17_10 Depth 2
	v_add_co_u32 v6, s2, v6, v0
	v_mov_b32_e32 v9, v3
	v_add_co_ci_u32_e64 v7, s2, 0, v7, s2
	v_dual_mov_b32 v29, s5 :: v_dual_mov_b32 v8, v2
	s_mov_b32 s12, exec_lo
	ds_store_b8 v17, v19 offset:32
	s_waitcnt lgkmcnt(0)
	buffer_gl0_inv
	v_cmpx_lt_i64_e64 v[6:7], v[2:3]
	s_cbranch_execz .LBB17_15
; %bb.8:                                ;   in Loop: Header=BB17_7 Depth=1
	v_lshlrev_b64 v[8:9], 2, v[6:7]
	v_mov_b32_e32 v29, s5
	s_mov_b32 s13, 0
	s_delay_alu instid0(VALU_DEP_2) | instskip(NEXT) | instid1(VALU_DEP_1)
	v_add_co_u32 v10, s2, s8, v8
	v_add_co_ci_u32_e64 v11, s2, s9, v9, s2
	v_dual_mov_b32 v9, v3 :: v_dual_mov_b32 v8, v2
	s_branch .LBB17_10
.LBB17_9:                               ;   in Loop: Header=BB17_10 Depth=2
	s_or_b32 exec_lo, exec_lo, s3
	v_add_co_u32 v6, s3, v6, 2
	s_delay_alu instid0(VALU_DEP_1) | instskip(SKIP_1) | instid1(VALU_DEP_1)
	v_add_co_ci_u32_e64 v7, s3, 0, v7, s3
	s_xor_b32 s2, s2, -1
	v_cmp_ge_i64_e64 s3, v[6:7], v[2:3]
	s_delay_alu instid0(VALU_DEP_1) | instskip(SKIP_1) | instid1(VALU_DEP_1)
	s_or_b32 s3, s2, s3
	v_add_co_u32 v10, s2, v10, 8
	v_add_co_ci_u32_e64 v11, s2, 0, v11, s2
	s_and_b32 s2, exec_lo, s3
	s_delay_alu instid0(SALU_CYCLE_1) | instskip(NEXT) | instid1(SALU_CYCLE_1)
	s_or_b32 s13, s2, s13
	s_and_not1_b32 exec_lo, exec_lo, s13
	s_cbranch_execz .LBB17_14
.LBB17_10:                              ;   Parent Loop BB17_7 Depth=1
                                        ; =>  This Inner Loop Header: Depth=2
	global_load_b32 v12, v[10:11], off
	s_waitcnt vmcnt(0)
	v_subrev_nc_u32_e32 v12, s7, v12
	s_delay_alu instid0(VALU_DEP_1) | instskip(NEXT) | instid1(VALU_DEP_1)
	v_sub_nc_u32_e32 v13, 0, v12
	v_max_i32_e32 v13, v12, v13
	v_ashrrev_i32_e32 v12, 31, v12
	s_delay_alu instid0(VALU_DEP_2) | instskip(NEXT) | instid1(VALU_DEP_2)
	v_mul_hi_u32 v14, v13, v27
	v_xor_b32_e32 v12, s6, v12
	s_delay_alu instid0(VALU_DEP_2) | instskip(NEXT) | instid1(VALU_DEP_1)
	v_mul_lo_u32 v15, v14, s10
	v_sub_nc_u32_e32 v13, v13, v15
	v_add_nc_u32_e32 v15, 1, v14
	s_delay_alu instid0(VALU_DEP_2) | instskip(SKIP_1) | instid1(VALU_DEP_1)
	v_subrev_nc_u32_e32 v30, s10, v13
	v_cmp_le_u32_e64 s2, s10, v13
	v_cndmask_b32_e64 v14, v14, v15, s2
	s_delay_alu instid0(VALU_DEP_3) | instskip(NEXT) | instid1(VALU_DEP_2)
	v_cndmask_b32_e64 v13, v13, v30, s2
	v_add_nc_u32_e32 v15, 1, v14
	s_delay_alu instid0(VALU_DEP_2) | instskip(NEXT) | instid1(VALU_DEP_1)
	v_cmp_le_u32_e64 s2, s10, v13
	v_cndmask_b32_e64 v13, v14, v15, s2
	s_delay_alu instid0(VALU_DEP_1) | instskip(NEXT) | instid1(VALU_DEP_1)
	v_xor_b32_e32 v13, v13, v12
	v_sub_nc_u32_e32 v14, v13, v12
	v_dual_mov_b32 v13, v9 :: v_dual_mov_b32 v12, v8
	s_delay_alu instid0(VALU_DEP_2) | instskip(NEXT) | instid1(VALU_DEP_1)
	v_ashrrev_i32_e32 v15, 31, v14
	v_cmp_eq_u64_e64 s2, v[4:5], v[14:15]
	v_cmp_ne_u64_e64 s3, v[4:5], v[14:15]
	s_delay_alu instid0(VALU_DEP_1) | instskip(NEXT) | instid1(SALU_CYCLE_1)
	s_and_saveexec_b32 s14, s3
	s_xor_b32 s3, exec_lo, s14
; %bb.11:                               ;   in Loop: Header=BB17_10 Depth=2
	v_min_i32_e32 v29, v14, v29
                                        ; implicit-def: $vgpr12_vgpr13
; %bb.12:                               ;   in Loop: Header=BB17_10 Depth=2
	s_or_saveexec_b32 s3, s3
	v_dual_mov_b32 v9, v7 :: v_dual_mov_b32 v8, v6
	s_xor_b32 exec_lo, exec_lo, s3
	s_cbranch_execz .LBB17_9
; %bb.13:                               ;   in Loop: Header=BB17_10 Depth=2
	v_dual_mov_b32 v8, v12 :: v_dual_mov_b32 v9, v13
	ds_store_b8 v17, v28 offset:32
	s_branch .LBB17_9
.LBB17_14:                              ;   in Loop: Header=BB17_7 Depth=1
	s_or_b32 exec_lo, exec_lo, s13
.LBB17_15:                              ;   in Loop: Header=BB17_7 Depth=1
	s_delay_alu instid0(SALU_CYCLE_1)
	s_or_b32 exec_lo, exec_lo, s12
	ds_bpermute_b32 v4, v22, v8
	ds_bpermute_b32 v5, v22, v9
	s_waitcnt lgkmcnt(0)
	buffer_gl0_inv
	ds_load_u8 v10, v17 offset:32
	v_cmp_lt_i64_e64 s2, v[4:5], v[8:9]
	s_delay_alu instid0(VALU_DEP_1)
	v_cndmask_b32_e64 v5, v9, v5, s2
	v_cndmask_b32_e64 v4, v8, v4, s2
	ds_bpermute_b32 v7, v21, v5
	ds_bpermute_b32 v6, v21, v4
	s_waitcnt lgkmcnt(2)
	v_and_b32_e32 v4, 1, v10
	s_delay_alu instid0(VALU_DEP_1) | instskip(NEXT) | instid1(VALU_DEP_1)
	v_cmp_eq_u32_e64 s2, 1, v4
	s_and_b32 s3, vcc_lo, s2
	s_delay_alu instid0(SALU_CYCLE_1)
	s_and_saveexec_b32 s2, s3
	s_cbranch_execz .LBB17_6
; %bb.16:                               ;   in Loop: Header=BB17_7 Depth=1
	ds_load_b32 v4, v16
	s_waitcnt lgkmcnt(0)
	v_add_nc_u32_e32 v4, 1, v4
	ds_store_b32 v16, v4
	s_branch .LBB17_6
.LBB17_17:
	s_or_b32 exec_lo, exec_lo, s11
.LBB17_18:
	s_delay_alu instid0(SALU_CYCLE_1)
	s_mov_b32 s2, exec_lo
	v_cmpx_eq_u32_e32 0, v18
	s_cbranch_execz .LBB17_21
; %bb.19:
	s_clause 0x1
	s_load_b32 s2, s[0:1], 0x28
	s_load_b64 s[0:1], s[0:1], 0x30
	v_cmp_gt_u32_e32 vcc_lo, s4, v1
	s_waitcnt lgkmcnt(0)
	v_dual_mov_b32 v3, 0 :: v_dual_mov_b32 v2, s2
	global_store_b64 v3, v[2:3], s[0:1]
	s_and_b32 exec_lo, exec_lo, vcc_lo
	s_cbranch_execz .LBB17_21
; %bb.20:
	ds_load_b32 v0, v16
	v_mov_b32_e32 v2, v3
	s_delay_alu instid0(VALU_DEP_1) | instskip(NEXT) | instid1(VALU_DEP_1)
	v_lshlrev_b64 v[1:2], 3, v[1:2]
	v_add_co_u32 v3, vcc_lo, s0, v1
	s_delay_alu instid0(VALU_DEP_2)
	v_add_co_ci_u32_e32 v4, vcc_lo, s1, v2, vcc_lo
	s_waitcnt lgkmcnt(0)
	v_ashrrev_i32_e32 v1, 31, v0
	global_store_b64 v[3:4], v[0:1], off offset:8
.LBB17_21:
	s_nop 0
	s_sendmsg sendmsg(MSG_DEALLOC_VGPRS)
	s_endpgm
	.section	.rodata,"a",@progbits
	.p2align	6, 0x0
	.amdhsa_kernel _ZN9rocsparseL46csr2bsr_nnz_wavefront_per_row_multipass_kernelILj256ELj32ELj16EliEEvT3_S1_S1_S1_S1_21rocsparse_index_base_PKT2_PKS1_S2_PS3_
		.amdhsa_group_segment_fixed_size 40
		.amdhsa_private_segment_fixed_size 0
		.amdhsa_kernarg_size 56
		.amdhsa_user_sgpr_count 15
		.amdhsa_user_sgpr_dispatch_ptr 0
		.amdhsa_user_sgpr_queue_ptr 0
		.amdhsa_user_sgpr_kernarg_segment_ptr 1
		.amdhsa_user_sgpr_dispatch_id 0
		.amdhsa_user_sgpr_private_segment_size 0
		.amdhsa_wavefront_size32 1
		.amdhsa_uses_dynamic_stack 0
		.amdhsa_enable_private_segment 0
		.amdhsa_system_sgpr_workgroup_id_x 1
		.amdhsa_system_sgpr_workgroup_id_y 0
		.amdhsa_system_sgpr_workgroup_id_z 0
		.amdhsa_system_sgpr_workgroup_info 0
		.amdhsa_system_vgpr_workitem_id 0
		.amdhsa_next_free_vgpr 31
		.amdhsa_next_free_sgpr 16
		.amdhsa_reserve_vcc 1
		.amdhsa_float_round_mode_32 0
		.amdhsa_float_round_mode_16_64 0
		.amdhsa_float_denorm_mode_32 3
		.amdhsa_float_denorm_mode_16_64 3
		.amdhsa_dx10_clamp 1
		.amdhsa_ieee_mode 1
		.amdhsa_fp16_overflow 0
		.amdhsa_workgroup_processor_mode 1
		.amdhsa_memory_ordered 1
		.amdhsa_forward_progress 0
		.amdhsa_shared_vgpr_count 0
		.amdhsa_exception_fp_ieee_invalid_op 0
		.amdhsa_exception_fp_denorm_src 0
		.amdhsa_exception_fp_ieee_div_zero 0
		.amdhsa_exception_fp_ieee_overflow 0
		.amdhsa_exception_fp_ieee_underflow 0
		.amdhsa_exception_fp_ieee_inexact 0
		.amdhsa_exception_int_div_zero 0
	.end_amdhsa_kernel
	.section	.text._ZN9rocsparseL46csr2bsr_nnz_wavefront_per_row_multipass_kernelILj256ELj32ELj16EliEEvT3_S1_S1_S1_S1_21rocsparse_index_base_PKT2_PKS1_S2_PS3_,"axG",@progbits,_ZN9rocsparseL46csr2bsr_nnz_wavefront_per_row_multipass_kernelILj256ELj32ELj16EliEEvT3_S1_S1_S1_S1_21rocsparse_index_base_PKT2_PKS1_S2_PS3_,comdat
.Lfunc_end17:
	.size	_ZN9rocsparseL46csr2bsr_nnz_wavefront_per_row_multipass_kernelILj256ELj32ELj16EliEEvT3_S1_S1_S1_S1_21rocsparse_index_base_PKT2_PKS1_S2_PS3_, .Lfunc_end17-_ZN9rocsparseL46csr2bsr_nnz_wavefront_per_row_multipass_kernelILj256ELj32ELj16EliEEvT3_S1_S1_S1_S1_21rocsparse_index_base_PKT2_PKS1_S2_PS3_
                                        ; -- End function
	.section	.AMDGPU.csdata,"",@progbits
; Kernel info:
; codeLenInByte = 1400
; NumSgprs: 18
; NumVgprs: 31
; ScratchSize: 0
; MemoryBound: 0
; FloatMode: 240
; IeeeMode: 1
; LDSByteSize: 40 bytes/workgroup (compile time only)
; SGPRBlocks: 2
; VGPRBlocks: 3
; NumSGPRsForWavesPerEU: 18
; NumVGPRsForWavesPerEU: 31
; Occupancy: 16
; WaveLimiterHint : 0
; COMPUTE_PGM_RSRC2:SCRATCH_EN: 0
; COMPUTE_PGM_RSRC2:USER_SGPR: 15
; COMPUTE_PGM_RSRC2:TRAP_HANDLER: 0
; COMPUTE_PGM_RSRC2:TGID_X_EN: 1
; COMPUTE_PGM_RSRC2:TGID_Y_EN: 0
; COMPUTE_PGM_RSRC2:TGID_Z_EN: 0
; COMPUTE_PGM_RSRC2:TIDIG_COMP_CNT: 0
	.section	.text._ZN9rocsparseL42csr2bsr_nnz_block_per_row_multipass_kernelILj256ELj32EliEEvT2_S1_S1_S1_S1_21rocsparse_index_base_PKT1_PKS1_S2_PS3_,"axG",@progbits,_ZN9rocsparseL42csr2bsr_nnz_block_per_row_multipass_kernelILj256ELj32EliEEvT2_S1_S1_S1_S1_21rocsparse_index_base_PKT1_PKS1_S2_PS3_,comdat
	.globl	_ZN9rocsparseL42csr2bsr_nnz_block_per_row_multipass_kernelILj256ELj32EliEEvT2_S1_S1_S1_S1_21rocsparse_index_base_PKT1_PKS1_S2_PS3_ ; -- Begin function _ZN9rocsparseL42csr2bsr_nnz_block_per_row_multipass_kernelILj256ELj32EliEEvT2_S1_S1_S1_S1_21rocsparse_index_base_PKT1_PKS1_S2_PS3_
	.p2align	8
	.type	_ZN9rocsparseL42csr2bsr_nnz_block_per_row_multipass_kernelILj256ELj32EliEEvT2_S1_S1_S1_S1_21rocsparse_index_base_PKT1_PKS1_S2_PS3_,@function
_ZN9rocsparseL42csr2bsr_nnz_block_per_row_multipass_kernelILj256ELj32EliEEvT2_S1_S1_S1_S1_21rocsparse_index_base_PKT1_PKS1_S2_PS3_: ; @_ZN9rocsparseL42csr2bsr_nnz_block_per_row_multipass_kernelILj256ELj32EliEEvT2_S1_S1_S1_S1_21rocsparse_index_base_PKT1_PKS1_S2_PS3_
; %bb.0:
	s_mov_b32 s16, s15
	s_clause 0x1
	s_load_b128 s[12:15], s[0:1], 0xc
	s_load_b32 s2, s[0:1], 0x0
	v_lshrrev_b32_e32 v3, 3, v0
	s_load_b64 s[4:5], s[0:1], 0x18
	v_mov_b32_e32 v1, 0
	v_mov_b32_e32 v2, 0
	s_waitcnt lgkmcnt(0)
	v_mad_u64_u32 v[5:6], null, s16, s13, v[3:4]
	v_mov_b32_e32 v4, 0
	ds_store_b32 v4, v4 offset:1024
	v_cmp_gt_i32_e32 vcc_lo, s2, v5
	v_cmp_gt_i32_e64 s2, s13, v3
	v_dual_mov_b32 v4, v2 :: v_dual_mov_b32 v3, v1
	s_waitcnt lgkmcnt(0)
	s_barrier
	s_delay_alu instid0(VALU_DEP_2)
	s_and_b32 s2, s2, vcc_lo
	buffer_gl0_inv
	s_and_saveexec_b32 s3, s2
	s_cbranch_execnz .LBB18_3
; %bb.1:
	s_or_b32 exec_lo, exec_lo, s3
	s_and_saveexec_b32 s3, s2
	s_cbranch_execnz .LBB18_4
.LBB18_2:
	s_or_b32 exec_lo, exec_lo, s3
	v_cmp_eq_u32_e64 s2, 0, v0
	s_cmp_lt_i32 s12, 1
	s_cbranch_scc0 .LBB18_5
	s_branch .LBB18_33
.LBB18_3:
	v_ashrrev_i32_e32 v6, 31, v5
	s_delay_alu instid0(VALU_DEP_1) | instskip(NEXT) | instid1(VALU_DEP_1)
	v_lshlrev_b64 v[3:4], 3, v[5:6]
	v_add_co_u32 v3, vcc_lo, s4, v3
	s_delay_alu instid0(VALU_DEP_2)
	v_add_co_ci_u32_e32 v4, vcc_lo, s5, v4, vcc_lo
	global_load_b64 v[3:4], v[3:4], off
	s_waitcnt vmcnt(0)
	v_sub_co_u32 v3, vcc_lo, v3, s14
	v_subrev_co_ci_u32_e32 v4, vcc_lo, 0, v4, vcc_lo
	s_or_b32 exec_lo, exec_lo, s3
	s_and_saveexec_b32 s3, s2
	s_cbranch_execz .LBB18_2
.LBB18_4:
	v_ashrrev_i32_e32 v6, 31, v5
	s_delay_alu instid0(VALU_DEP_1) | instskip(NEXT) | instid1(VALU_DEP_1)
	v_lshlrev_b64 v[1:2], 3, v[5:6]
	v_add_co_u32 v1, vcc_lo, s4, v1
	s_delay_alu instid0(VALU_DEP_2)
	v_add_co_ci_u32_e32 v2, vcc_lo, s5, v2, vcc_lo
	global_load_b64 v[1:2], v[1:2], off offset:8
	s_waitcnt vmcnt(0)
	v_sub_co_u32 v1, vcc_lo, v1, s14
	v_subrev_co_ci_u32_e32 v2, vcc_lo, 0, v2, vcc_lo
	s_or_b32 exec_lo, exec_lo, s3
	v_cmp_eq_u32_e64 s2, 0, v0
	s_cmp_lt_i32 s12, 1
	s_cbranch_scc1 .LBB18_33
.LBB18_5:
	s_abs_i32 s11, s13
	v_mbcnt_lo_u32_b32 v7, -1, 0
	v_cvt_f32_u32_e32 v5, s11
	s_sub_i32 s9, 0, s11
	s_load_b64 s[18:19], s[0:1], 0x20
	v_dual_mov_b32 v16, 0 :: v_dual_and_b32 v15, 7, v0
	s_delay_alu instid0(VALU_DEP_2)
	v_rcp_iflag_f32_e32 v5, v5
	v_xor_b32_e32 v9, 2, v7
	v_xor_b32_e32 v10, 1, v7
	v_cmp_gt_u32_e64 s3, 0x80, v0
	v_cmp_gt_u32_e64 s4, 64, v0
	;; [unrolled: 1-line block ×6, first 2 shown]
	v_lshl_or_b32 v18, v7, 2, 28
	v_mul_f32_e32 v5, 0x4f7ffffe, v5
	v_mov_b32_e32 v23, 1
	s_ashr_i32 s13, s13, 31
	s_delay_alu instid0(VALU_DEP_2) | instskip(SKIP_1) | instid1(VALU_DEP_2)
	v_cvt_u32_f32_e32 v8, v5
	v_xor_b32_e32 v5, 4, v7
	v_mul_lo_u32 v6, s9, v8
	s_delay_alu instid0(VALU_DEP_2)
	v_cmp_gt_i32_e32 vcc_lo, 32, v5
	v_cmp_gt_u32_e64 s9, 2, v0
	v_cndmask_b32_e32 v11, v7, v5, vcc_lo
	v_cmp_gt_i32_e32 vcc_lo, 32, v9
	v_mul_hi_u32 v12, v8, v6
	v_cndmask_b32_e32 v9, v7, v9, vcc_lo
	v_cmp_gt_i32_e32 vcc_lo, 32, v10
	v_lshlrev_b32_e32 v17, 2, v0
	v_mov_b32_e32 v5, 0
	v_mov_b32_e32 v6, 0
	v_lshlrev_b32_e32 v20, 2, v9
	v_dual_cndmask_b32 v10, v7, v10 :: v_dual_lshlrev_b32 v19, 2, v11
	v_add_nc_u32_e32 v22, v8, v12
	s_delay_alu instid0(VALU_DEP_2)
	v_lshlrev_b32_e32 v21, 2, v10
	s_branch .LBB18_7
.LBB18_6:                               ;   in Loop: Header=BB18_7 Depth=1
	s_or_b32 exec_lo, exec_lo, s10
	s_waitcnt lgkmcnt(0)
	s_barrier
	buffer_gl0_inv
	ds_load_b32 v5, v16
	s_waitcnt lgkmcnt(0)
	s_barrier
	buffer_gl0_inv
	v_cmp_gt_i32_e32 vcc_lo, s12, v5
	v_ashrrev_i32_e32 v6, 31, v5
	s_cbranch_vccz .LBB18_33
.LBB18_7:                               ; =>This Loop Header: Depth=1
                                        ;     Child Loop BB18_10 Depth 2
	v_add_co_u32 v3, vcc_lo, v3, v15
	v_mov_b32_e32 v8, v2
	v_add_co_ci_u32_e32 v4, vcc_lo, 0, v4, vcc_lo
	v_dual_mov_b32 v24, s12 :: v_dual_mov_b32 v7, v1
	s_mov_b32 s15, exec_lo
	ds_store_b8 v16, v16 offset:1028
	s_waitcnt lgkmcnt(0)
	s_barrier
	buffer_gl0_inv
	v_cmpx_lt_i64_e64 v[3:4], v[1:2]
	s_cbranch_execz .LBB18_15
; %bb.8:                                ;   in Loop: Header=BB18_7 Depth=1
	v_lshlrev_b64 v[7:8], 2, v[3:4]
	v_mov_b32_e32 v24, s12
	s_mov_b32 s17, 0
	s_delay_alu instid0(VALU_DEP_2) | instskip(NEXT) | instid1(VALU_DEP_3)
	v_add_co_u32 v9, vcc_lo, s18, v7
	v_add_co_ci_u32_e32 v10, vcc_lo, s19, v8, vcc_lo
	v_dual_mov_b32 v8, v2 :: v_dual_mov_b32 v7, v1
	s_branch .LBB18_10
.LBB18_9:                               ;   in Loop: Header=BB18_10 Depth=2
	s_or_b32 exec_lo, exec_lo, s10
	v_add_co_u32 v3, s10, v3, 8
	s_delay_alu instid0(VALU_DEP_1) | instskip(SKIP_2) | instid1(VALU_DEP_2)
	v_add_co_ci_u32_e64 v4, s10, 0, v4, s10
	s_xor_b32 s20, vcc_lo, -1
	v_add_co_u32 v9, vcc_lo, v9, 32
	v_cmp_ge_i64_e64 s10, v[3:4], v[1:2]
	v_add_co_ci_u32_e32 v10, vcc_lo, 0, v10, vcc_lo
	s_delay_alu instid0(VALU_DEP_2) | instskip(NEXT) | instid1(SALU_CYCLE_1)
	s_or_b32 s10, s20, s10
	s_and_b32 s10, exec_lo, s10
	s_delay_alu instid0(SALU_CYCLE_1) | instskip(NEXT) | instid1(SALU_CYCLE_1)
	s_or_b32 s17, s10, s17
	s_and_not1_b32 exec_lo, exec_lo, s17
	s_cbranch_execz .LBB18_14
.LBB18_10:                              ;   Parent Loop BB18_7 Depth=1
                                        ; =>  This Inner Loop Header: Depth=2
	global_load_b32 v11, v[9:10], off
	s_waitcnt vmcnt(0)
	v_subrev_nc_u32_e32 v11, s14, v11
	s_delay_alu instid0(VALU_DEP_1) | instskip(NEXT) | instid1(VALU_DEP_1)
	v_sub_nc_u32_e32 v12, 0, v11
	v_max_i32_e32 v12, v11, v12
	v_ashrrev_i32_e32 v11, 31, v11
	s_delay_alu instid0(VALU_DEP_2) | instskip(NEXT) | instid1(VALU_DEP_2)
	v_mul_hi_u32 v13, v12, v22
	v_xor_b32_e32 v11, s13, v11
	s_delay_alu instid0(VALU_DEP_2) | instskip(NEXT) | instid1(VALU_DEP_1)
	v_mul_lo_u32 v14, v13, s11
	v_sub_nc_u32_e32 v12, v12, v14
	v_add_nc_u32_e32 v14, 1, v13
	s_delay_alu instid0(VALU_DEP_2) | instskip(SKIP_1) | instid1(VALU_DEP_2)
	v_subrev_nc_u32_e32 v25, s11, v12
	v_cmp_le_u32_e32 vcc_lo, s11, v12
	v_dual_cndmask_b32 v13, v13, v14 :: v_dual_cndmask_b32 v12, v12, v25
	s_delay_alu instid0(VALU_DEP_1) | instskip(NEXT) | instid1(VALU_DEP_2)
	v_add_nc_u32_e32 v14, 1, v13
	v_cmp_le_u32_e32 vcc_lo, s11, v12
	s_delay_alu instid0(VALU_DEP_2) | instskip(NEXT) | instid1(VALU_DEP_1)
	v_cndmask_b32_e32 v12, v13, v14, vcc_lo
	v_xor_b32_e32 v12, v12, v11
	s_delay_alu instid0(VALU_DEP_1) | instskip(SKIP_1) | instid1(VALU_DEP_2)
	v_sub_nc_u32_e32 v13, v12, v11
	v_dual_mov_b32 v12, v8 :: v_dual_mov_b32 v11, v7
	v_ashrrev_i32_e32 v14, 31, v13
	s_delay_alu instid0(VALU_DEP_1) | instskip(SKIP_1) | instid1(VALU_DEP_1)
	v_cmp_eq_u64_e32 vcc_lo, v[5:6], v[13:14]
	v_cmp_ne_u64_e64 s10, v[5:6], v[13:14]
	s_and_saveexec_b32 s20, s10
	s_delay_alu instid0(SALU_CYCLE_1)
	s_xor_b32 s10, exec_lo, s20
; %bb.11:                               ;   in Loop: Header=BB18_10 Depth=2
	v_min_i32_e32 v24, v13, v24
                                        ; implicit-def: $vgpr11_vgpr12
; %bb.12:                               ;   in Loop: Header=BB18_10 Depth=2
	s_or_saveexec_b32 s10, s10
	v_dual_mov_b32 v8, v4 :: v_dual_mov_b32 v7, v3
	s_xor_b32 exec_lo, exec_lo, s10
	s_cbranch_execz .LBB18_9
; %bb.13:                               ;   in Loop: Header=BB18_10 Depth=2
	v_dual_mov_b32 v7, v11 :: v_dual_mov_b32 v8, v12
	ds_store_b8 v16, v23 offset:1028
	s_branch .LBB18_9
.LBB18_14:                              ;   in Loop: Header=BB18_7 Depth=1
	s_or_b32 exec_lo, exec_lo, s17
.LBB18_15:                              ;   in Loop: Header=BB18_7 Depth=1
	s_delay_alu instid0(SALU_CYCLE_1)
	s_or_b32 exec_lo, exec_lo, s15
	ds_bpermute_b32 v3, v19, v7
	ds_bpermute_b32 v4, v19, v8
	s_waitcnt lgkmcnt(0)
	s_barrier
	buffer_gl0_inv
	v_cmp_lt_i64_e32 vcc_lo, v[3:4], v[7:8]
	v_dual_cndmask_b32 v4, v8, v4 :: v_dual_cndmask_b32 v3, v7, v3
	ds_load_u8 v7, v16 offset:1028
	ds_bpermute_b32 v6, v20, v4
	ds_bpermute_b32 v5, v20, v3
	s_waitcnt lgkmcnt(2)
	v_readfirstlane_b32 s10, v7
	s_waitcnt lgkmcnt(0)
	v_cmp_lt_i64_e32 vcc_lo, v[5:6], v[3:4]
	s_delay_alu instid0(VALU_DEP_2) | instskip(SKIP_1) | instid1(SALU_CYCLE_1)
	s_bitcmp1_b32 s10, 0
	s_cselect_b32 s10, -1, 0
	s_and_b32 s15, s2, s10
	v_dual_cndmask_b32 v4, v4, v6 :: v_dual_cndmask_b32 v3, v3, v5
	ds_bpermute_b32 v6, v21, v4
	ds_bpermute_b32 v5, v21, v3
	s_waitcnt lgkmcnt(0)
	v_cmp_lt_i64_e32 vcc_lo, v[5:6], v[3:4]
	v_dual_cndmask_b32 v4, v4, v6 :: v_dual_cndmask_b32 v3, v3, v5
	ds_bpermute_b32 v4, v18, v4
	ds_bpermute_b32 v3, v18, v3
	s_and_saveexec_b32 s10, s15
	s_cbranch_execz .LBB18_17
; %bb.16:                               ;   in Loop: Header=BB18_7 Depth=1
	ds_load_b32 v5, v16 offset:1024
	s_waitcnt lgkmcnt(0)
	v_add_nc_u32_e32 v5, 1, v5
	ds_store_b32 v16, v5 offset:1024
.LBB18_17:                              ;   in Loop: Header=BB18_7 Depth=1
	s_or_b32 exec_lo, exec_lo, s10
	ds_store_b32 v17, v24
	s_waitcnt lgkmcnt(0)
	s_barrier
	buffer_gl0_inv
	s_and_saveexec_b32 s10, s3
	s_cbranch_execz .LBB18_19
; %bb.18:                               ;   in Loop: Header=BB18_7 Depth=1
	ds_load_2addr_stride64_b32 v[5:6], v17 offset1:2
	s_waitcnt lgkmcnt(0)
	v_min_i32_e32 v5, v6, v5
	ds_store_b32 v17, v5
.LBB18_19:                              ;   in Loop: Header=BB18_7 Depth=1
	s_or_b32 exec_lo, exec_lo, s10
	s_waitcnt lgkmcnt(0)
	s_barrier
	buffer_gl0_inv
	s_and_saveexec_b32 s10, s4
	s_cbranch_execz .LBB18_21
; %bb.20:                               ;   in Loop: Header=BB18_7 Depth=1
	ds_load_2addr_stride64_b32 v[5:6], v17 offset1:1
	s_waitcnt lgkmcnt(0)
	v_min_i32_e32 v5, v6, v5
	ds_store_b32 v17, v5
.LBB18_21:                              ;   in Loop: Header=BB18_7 Depth=1
	s_or_b32 exec_lo, exec_lo, s10
	s_waitcnt lgkmcnt(0)
	s_barrier
	buffer_gl0_inv
	s_and_saveexec_b32 s10, s5
	s_cbranch_execz .LBB18_23
; %bb.22:                               ;   in Loop: Header=BB18_7 Depth=1
	ds_load_2addr_b32 v[5:6], v17 offset1:32
	s_waitcnt lgkmcnt(0)
	v_min_i32_e32 v5, v6, v5
	ds_store_b32 v17, v5
.LBB18_23:                              ;   in Loop: Header=BB18_7 Depth=1
	s_or_b32 exec_lo, exec_lo, s10
	s_waitcnt lgkmcnt(0)
	s_barrier
	buffer_gl0_inv
	s_and_saveexec_b32 s10, s6
	s_cbranch_execz .LBB18_25
; %bb.24:                               ;   in Loop: Header=BB18_7 Depth=1
	ds_load_2addr_b32 v[5:6], v17 offset1:16
	s_waitcnt lgkmcnt(0)
	v_min_i32_e32 v5, v6, v5
	ds_store_b32 v17, v5
.LBB18_25:                              ;   in Loop: Header=BB18_7 Depth=1
	;; [unrolled: 12-line block ×5, first 2 shown]
	s_or_b32 exec_lo, exec_lo, s10
	s_waitcnt lgkmcnt(0)
	s_barrier
	buffer_gl0_inv
	s_and_saveexec_b32 s10, s2
	s_cbranch_execz .LBB18_6
; %bb.32:                               ;   in Loop: Header=BB18_7 Depth=1
	ds_load_b64 v[5:6], v16
	s_waitcnt lgkmcnt(0)
	v_min_i32_e32 v5, v6, v5
	ds_store_b32 v16, v5
	s_branch .LBB18_6
.LBB18_33:
	s_mov_b32 s2, exec_lo
	v_cmpx_eq_u32_e32 0, v0
	s_cbranch_execz .LBB18_35
; %bb.34:
	s_load_b32 s2, s[0:1], 0x28
	v_mov_b32_e32 v1, 0
	s_load_b64 s[0:1], s[0:1], 0x30
	s_ashr_i32 s17, s16, 31
	s_waitcnt lgkmcnt(0)
	v_mov_b32_e32 v0, s2
	ds_load_b32 v2, v1 offset:1024
	s_lshl_b64 s[2:3], s[16:17], 3
	s_delay_alu instid0(SALU_CYCLE_1)
	s_add_u32 s2, s0, s2
	s_addc_u32 s3, s1, s3
	s_waitcnt lgkmcnt(0)
	v_ashrrev_i32_e32 v3, 31, v2
	s_clause 0x1
	global_store_b64 v1, v[0:1], s[0:1]
	global_store_b64 v1, v[2:3], s[2:3] offset:8
.LBB18_35:
	s_nop 0
	s_sendmsg sendmsg(MSG_DEALLOC_VGPRS)
	s_endpgm
	.section	.rodata,"a",@progbits
	.p2align	6, 0x0
	.amdhsa_kernel _ZN9rocsparseL42csr2bsr_nnz_block_per_row_multipass_kernelILj256ELj32EliEEvT2_S1_S1_S1_S1_21rocsparse_index_base_PKT1_PKS1_S2_PS3_
		.amdhsa_group_segment_fixed_size 1032
		.amdhsa_private_segment_fixed_size 0
		.amdhsa_kernarg_size 56
		.amdhsa_user_sgpr_count 15
		.amdhsa_user_sgpr_dispatch_ptr 0
		.amdhsa_user_sgpr_queue_ptr 0
		.amdhsa_user_sgpr_kernarg_segment_ptr 1
		.amdhsa_user_sgpr_dispatch_id 0
		.amdhsa_user_sgpr_private_segment_size 0
		.amdhsa_wavefront_size32 1
		.amdhsa_uses_dynamic_stack 0
		.amdhsa_enable_private_segment 0
		.amdhsa_system_sgpr_workgroup_id_x 1
		.amdhsa_system_sgpr_workgroup_id_y 0
		.amdhsa_system_sgpr_workgroup_id_z 0
		.amdhsa_system_sgpr_workgroup_info 0
		.amdhsa_system_vgpr_workitem_id 0
		.amdhsa_next_free_vgpr 26
		.amdhsa_next_free_sgpr 21
		.amdhsa_reserve_vcc 1
		.amdhsa_float_round_mode_32 0
		.amdhsa_float_round_mode_16_64 0
		.amdhsa_float_denorm_mode_32 3
		.amdhsa_float_denorm_mode_16_64 3
		.amdhsa_dx10_clamp 1
		.amdhsa_ieee_mode 1
		.amdhsa_fp16_overflow 0
		.amdhsa_workgroup_processor_mode 1
		.amdhsa_memory_ordered 1
		.amdhsa_forward_progress 0
		.amdhsa_shared_vgpr_count 0
		.amdhsa_exception_fp_ieee_invalid_op 0
		.amdhsa_exception_fp_denorm_src 0
		.amdhsa_exception_fp_ieee_div_zero 0
		.amdhsa_exception_fp_ieee_overflow 0
		.amdhsa_exception_fp_ieee_underflow 0
		.amdhsa_exception_fp_ieee_inexact 0
		.amdhsa_exception_int_div_zero 0
	.end_amdhsa_kernel
	.section	.text._ZN9rocsparseL42csr2bsr_nnz_block_per_row_multipass_kernelILj256ELj32EliEEvT2_S1_S1_S1_S1_21rocsparse_index_base_PKT1_PKS1_S2_PS3_,"axG",@progbits,_ZN9rocsparseL42csr2bsr_nnz_block_per_row_multipass_kernelILj256ELj32EliEEvT2_S1_S1_S1_S1_21rocsparse_index_base_PKT1_PKS1_S2_PS3_,comdat
.Lfunc_end18:
	.size	_ZN9rocsparseL42csr2bsr_nnz_block_per_row_multipass_kernelILj256ELj32EliEEvT2_S1_S1_S1_S1_21rocsparse_index_base_PKT1_PKS1_S2_PS3_, .Lfunc_end18-_ZN9rocsparseL42csr2bsr_nnz_block_per_row_multipass_kernelILj256ELj32EliEEvT2_S1_S1_S1_S1_21rocsparse_index_base_PKT1_PKS1_S2_PS3_
                                        ; -- End function
	.section	.AMDGPU.csdata,"",@progbits
; Kernel info:
; codeLenInByte = 1708
; NumSgprs: 23
; NumVgprs: 26
; ScratchSize: 0
; MemoryBound: 0
; FloatMode: 240
; IeeeMode: 1
; LDSByteSize: 1032 bytes/workgroup (compile time only)
; SGPRBlocks: 2
; VGPRBlocks: 3
; NumSGPRsForWavesPerEU: 23
; NumVGPRsForWavesPerEU: 26
; Occupancy: 16
; WaveLimiterHint : 0
; COMPUTE_PGM_RSRC2:SCRATCH_EN: 0
; COMPUTE_PGM_RSRC2:USER_SGPR: 15
; COMPUTE_PGM_RSRC2:TRAP_HANDLER: 0
; COMPUTE_PGM_RSRC2:TGID_X_EN: 1
; COMPUTE_PGM_RSRC2:TGID_Y_EN: 0
; COMPUTE_PGM_RSRC2:TGID_Z_EN: 0
; COMPUTE_PGM_RSRC2:TIDIG_COMP_CNT: 0
	.section	.text._ZN9rocsparseL42csr2bsr_nnz_block_per_row_multipass_kernelILj256ELj64EliEEvT2_S1_S1_S1_S1_21rocsparse_index_base_PKT1_PKS1_S2_PS3_,"axG",@progbits,_ZN9rocsparseL42csr2bsr_nnz_block_per_row_multipass_kernelILj256ELj64EliEEvT2_S1_S1_S1_S1_21rocsparse_index_base_PKT1_PKS1_S2_PS3_,comdat
	.globl	_ZN9rocsparseL42csr2bsr_nnz_block_per_row_multipass_kernelILj256ELj64EliEEvT2_S1_S1_S1_S1_21rocsparse_index_base_PKT1_PKS1_S2_PS3_ ; -- Begin function _ZN9rocsparseL42csr2bsr_nnz_block_per_row_multipass_kernelILj256ELj64EliEEvT2_S1_S1_S1_S1_21rocsparse_index_base_PKT1_PKS1_S2_PS3_
	.p2align	8
	.type	_ZN9rocsparseL42csr2bsr_nnz_block_per_row_multipass_kernelILj256ELj64EliEEvT2_S1_S1_S1_S1_21rocsparse_index_base_PKT1_PKS1_S2_PS3_,@function
_ZN9rocsparseL42csr2bsr_nnz_block_per_row_multipass_kernelILj256ELj64EliEEvT2_S1_S1_S1_S1_21rocsparse_index_base_PKT1_PKS1_S2_PS3_: ; @_ZN9rocsparseL42csr2bsr_nnz_block_per_row_multipass_kernelILj256ELj64EliEEvT2_S1_S1_S1_S1_21rocsparse_index_base_PKT1_PKS1_S2_PS3_
; %bb.0:
	s_mov_b32 s16, s15
	s_clause 0x1
	s_load_b128 s[12:15], s[0:1], 0xc
	s_load_b32 s2, s[0:1], 0x0
	v_lshrrev_b32_e32 v3, 2, v0
	s_load_b64 s[4:5], s[0:1], 0x18
	v_mov_b32_e32 v1, 0
	v_mov_b32_e32 v2, 0
	s_waitcnt lgkmcnt(0)
	v_mad_u64_u32 v[5:6], null, s16, s13, v[3:4]
	v_mov_b32_e32 v4, 0
	ds_store_b32 v4, v4 offset:1024
	v_cmp_gt_i32_e32 vcc_lo, s2, v5
	v_cmp_gt_i32_e64 s2, s13, v3
	v_dual_mov_b32 v4, v2 :: v_dual_mov_b32 v3, v1
	s_waitcnt lgkmcnt(0)
	s_barrier
	s_delay_alu instid0(VALU_DEP_2)
	s_and_b32 s2, s2, vcc_lo
	buffer_gl0_inv
	s_and_saveexec_b32 s3, s2
	s_cbranch_execnz .LBB19_3
; %bb.1:
	s_or_b32 exec_lo, exec_lo, s3
	s_and_saveexec_b32 s3, s2
	s_cbranch_execnz .LBB19_4
.LBB19_2:
	s_or_b32 exec_lo, exec_lo, s3
	v_cmp_eq_u32_e64 s2, 0, v0
	s_cmp_lt_i32 s12, 1
	s_cbranch_scc0 .LBB19_5
	s_branch .LBB19_33
.LBB19_3:
	v_ashrrev_i32_e32 v6, 31, v5
	s_delay_alu instid0(VALU_DEP_1) | instskip(NEXT) | instid1(VALU_DEP_1)
	v_lshlrev_b64 v[3:4], 3, v[5:6]
	v_add_co_u32 v3, vcc_lo, s4, v3
	s_delay_alu instid0(VALU_DEP_2)
	v_add_co_ci_u32_e32 v4, vcc_lo, s5, v4, vcc_lo
	global_load_b64 v[3:4], v[3:4], off
	s_waitcnt vmcnt(0)
	v_sub_co_u32 v3, vcc_lo, v3, s14
	v_subrev_co_ci_u32_e32 v4, vcc_lo, 0, v4, vcc_lo
	s_or_b32 exec_lo, exec_lo, s3
	s_and_saveexec_b32 s3, s2
	s_cbranch_execz .LBB19_2
.LBB19_4:
	v_ashrrev_i32_e32 v6, 31, v5
	s_delay_alu instid0(VALU_DEP_1) | instskip(NEXT) | instid1(VALU_DEP_1)
	v_lshlrev_b64 v[1:2], 3, v[5:6]
	v_add_co_u32 v1, vcc_lo, s4, v1
	s_delay_alu instid0(VALU_DEP_2)
	v_add_co_ci_u32_e32 v2, vcc_lo, s5, v2, vcc_lo
	global_load_b64 v[1:2], v[1:2], off offset:8
	s_waitcnt vmcnt(0)
	v_sub_co_u32 v1, vcc_lo, v1, s14
	v_subrev_co_ci_u32_e32 v2, vcc_lo, 0, v2, vcc_lo
	s_or_b32 exec_lo, exec_lo, s3
	v_cmp_eq_u32_e64 s2, 0, v0
	s_cmp_lt_i32 s12, 1
	s_cbranch_scc1 .LBB19_33
.LBB19_5:
	s_abs_i32 s11, s13
	v_mbcnt_lo_u32_b32 v7, -1, 0
	v_cvt_f32_u32_e32 v5, s11
	s_sub_i32 s6, 0, s11
	s_load_b64 s[18:19], s[0:1], 0x20
	v_lshlrev_b32_e32 v17, 2, v0
	v_xor_b32_e32 v6, 2, v7
	v_rcp_iflag_f32_e32 v5, v5
	v_xor_b32_e32 v9, 1, v7
	v_cmp_gt_u32_e64 s3, 0x80, v0
	v_cmp_gt_u32_e64 s4, 64, v0
	v_cmp_gt_i32_e32 vcc_lo, 32, v6
	v_and_b32_e32 v15, 3, v0
	v_cmp_gt_u32_e64 s5, 32, v0
	v_cmp_gt_u32_e64 s7, 8, v0
	;; [unrolled: 1-line block ×3, first 2 shown]
	s_delay_alu instid0(TRANS32_DEP_1)
	v_dual_cndmask_b32 v10, v7, v6 :: v_dual_mul_f32 v5, 0x4f7ffffe, v5
	v_mov_b32_e32 v16, 0
	v_cmp_gt_i32_e32 vcc_lo, 32, v9
	v_mov_b32_e32 v22, 1
	v_cmp_gt_u32_e64 s9, 2, v0
	v_cvt_u32_f32_e32 v8, v5
	v_lshl_or_b32 v18, v7, 2, 12
	v_cndmask_b32_e32 v9, v7, v9, vcc_lo
	v_lshlrev_b32_e32 v19, 2, v10
	s_ashr_i32 s13, s13, 31
	v_mul_lo_u32 v5, s6, v8
	v_cmp_gt_u32_e64 s6, 16, v0
	v_lshlrev_b32_e32 v20, 2, v9
	s_delay_alu instid0(VALU_DEP_3) | instskip(SKIP_1) | instid1(VALU_DEP_2)
	v_mul_hi_u32 v11, v8, v5
	v_mov_b32_e32 v5, 0
	v_dual_mov_b32 v6, 0 :: v_dual_add_nc_u32 v21, v8, v11
	s_branch .LBB19_7
.LBB19_6:                               ;   in Loop: Header=BB19_7 Depth=1
	s_or_b32 exec_lo, exec_lo, s10
	s_waitcnt lgkmcnt(0)
	s_barrier
	buffer_gl0_inv
	ds_load_b32 v5, v16
	s_waitcnt lgkmcnt(0)
	s_barrier
	buffer_gl0_inv
	v_cmp_gt_i32_e32 vcc_lo, s12, v5
	v_ashrrev_i32_e32 v6, 31, v5
	s_cbranch_vccz .LBB19_33
.LBB19_7:                               ; =>This Loop Header: Depth=1
                                        ;     Child Loop BB19_10 Depth 2
	v_add_co_u32 v3, vcc_lo, v3, v15
	v_dual_mov_b32 v23, s12 :: v_dual_mov_b32 v8, v2
	v_add_co_ci_u32_e32 v4, vcc_lo, 0, v4, vcc_lo
	v_mov_b32_e32 v7, v1
	s_mov_b32 s15, exec_lo
	ds_store_b8 v16, v16 offset:1028
	s_waitcnt lgkmcnt(0)
	s_barrier
	buffer_gl0_inv
	v_cmpx_lt_i64_e64 v[3:4], v[1:2]
	s_cbranch_execz .LBB19_15
; %bb.8:                                ;   in Loop: Header=BB19_7 Depth=1
	v_lshlrev_b64 v[7:8], 2, v[3:4]
	v_mov_b32_e32 v23, s12
	s_mov_b32 s17, 0
	s_delay_alu instid0(VALU_DEP_2) | instskip(NEXT) | instid1(VALU_DEP_3)
	v_add_co_u32 v9, vcc_lo, s18, v7
	v_add_co_ci_u32_e32 v10, vcc_lo, s19, v8, vcc_lo
	v_dual_mov_b32 v8, v2 :: v_dual_mov_b32 v7, v1
	s_branch .LBB19_10
.LBB19_9:                               ;   in Loop: Header=BB19_10 Depth=2
	s_or_b32 exec_lo, exec_lo, s10
	v_add_co_u32 v3, s10, v3, 4
	s_delay_alu instid0(VALU_DEP_1) | instskip(SKIP_2) | instid1(VALU_DEP_2)
	v_add_co_ci_u32_e64 v4, s10, 0, v4, s10
	s_xor_b32 s20, vcc_lo, -1
	v_add_co_u32 v9, vcc_lo, v9, 16
	v_cmp_ge_i64_e64 s10, v[3:4], v[1:2]
	v_add_co_ci_u32_e32 v10, vcc_lo, 0, v10, vcc_lo
	s_delay_alu instid0(VALU_DEP_2) | instskip(NEXT) | instid1(SALU_CYCLE_1)
	s_or_b32 s10, s20, s10
	s_and_b32 s10, exec_lo, s10
	s_delay_alu instid0(SALU_CYCLE_1) | instskip(NEXT) | instid1(SALU_CYCLE_1)
	s_or_b32 s17, s10, s17
	s_and_not1_b32 exec_lo, exec_lo, s17
	s_cbranch_execz .LBB19_14
.LBB19_10:                              ;   Parent Loop BB19_7 Depth=1
                                        ; =>  This Inner Loop Header: Depth=2
	global_load_b32 v11, v[9:10], off
	s_waitcnt vmcnt(0)
	v_subrev_nc_u32_e32 v11, s14, v11
	s_delay_alu instid0(VALU_DEP_1) | instskip(NEXT) | instid1(VALU_DEP_1)
	v_sub_nc_u32_e32 v12, 0, v11
	v_max_i32_e32 v12, v11, v12
	v_ashrrev_i32_e32 v11, 31, v11
	s_delay_alu instid0(VALU_DEP_2) | instskip(NEXT) | instid1(VALU_DEP_2)
	v_mul_hi_u32 v13, v12, v21
	v_xor_b32_e32 v11, s13, v11
	s_delay_alu instid0(VALU_DEP_2) | instskip(NEXT) | instid1(VALU_DEP_1)
	v_mul_lo_u32 v14, v13, s11
	v_sub_nc_u32_e32 v12, v12, v14
	v_add_nc_u32_e32 v14, 1, v13
	s_delay_alu instid0(VALU_DEP_2) | instskip(SKIP_1) | instid1(VALU_DEP_2)
	v_subrev_nc_u32_e32 v24, s11, v12
	v_cmp_le_u32_e32 vcc_lo, s11, v12
	v_dual_cndmask_b32 v13, v13, v14 :: v_dual_cndmask_b32 v12, v12, v24
	s_delay_alu instid0(VALU_DEP_1) | instskip(NEXT) | instid1(VALU_DEP_2)
	v_add_nc_u32_e32 v14, 1, v13
	v_cmp_le_u32_e32 vcc_lo, s11, v12
	s_delay_alu instid0(VALU_DEP_2) | instskip(NEXT) | instid1(VALU_DEP_1)
	v_cndmask_b32_e32 v12, v13, v14, vcc_lo
	v_xor_b32_e32 v12, v12, v11
	s_delay_alu instid0(VALU_DEP_1) | instskip(SKIP_1) | instid1(VALU_DEP_2)
	v_sub_nc_u32_e32 v13, v12, v11
	v_dual_mov_b32 v12, v8 :: v_dual_mov_b32 v11, v7
	v_ashrrev_i32_e32 v14, 31, v13
	s_delay_alu instid0(VALU_DEP_1) | instskip(SKIP_1) | instid1(VALU_DEP_1)
	v_cmp_eq_u64_e32 vcc_lo, v[5:6], v[13:14]
	v_cmp_ne_u64_e64 s10, v[5:6], v[13:14]
	s_and_saveexec_b32 s20, s10
	s_delay_alu instid0(SALU_CYCLE_1)
	s_xor_b32 s10, exec_lo, s20
; %bb.11:                               ;   in Loop: Header=BB19_10 Depth=2
	v_min_i32_e32 v23, v13, v23
                                        ; implicit-def: $vgpr11_vgpr12
; %bb.12:                               ;   in Loop: Header=BB19_10 Depth=2
	s_or_saveexec_b32 s10, s10
	v_dual_mov_b32 v8, v4 :: v_dual_mov_b32 v7, v3
	s_xor_b32 exec_lo, exec_lo, s10
	s_cbranch_execz .LBB19_9
; %bb.13:                               ;   in Loop: Header=BB19_10 Depth=2
	v_dual_mov_b32 v7, v11 :: v_dual_mov_b32 v8, v12
	ds_store_b8 v16, v22 offset:1028
	s_branch .LBB19_9
.LBB19_14:                              ;   in Loop: Header=BB19_7 Depth=1
	s_or_b32 exec_lo, exec_lo, s17
.LBB19_15:                              ;   in Loop: Header=BB19_7 Depth=1
	s_delay_alu instid0(SALU_CYCLE_1)
	s_or_b32 exec_lo, exec_lo, s15
	ds_bpermute_b32 v3, v19, v7
	ds_bpermute_b32 v4, v19, v8
	s_waitcnt lgkmcnt(0)
	s_barrier
	buffer_gl0_inv
	v_cmp_lt_i64_e32 vcc_lo, v[3:4], v[7:8]
	v_dual_cndmask_b32 v4, v8, v4 :: v_dual_cndmask_b32 v3, v7, v3
	ds_load_u8 v7, v16 offset:1028
	ds_bpermute_b32 v6, v20, v4
	ds_bpermute_b32 v5, v20, v3
	s_waitcnt lgkmcnt(2)
	v_readfirstlane_b32 s10, v7
	s_waitcnt lgkmcnt(0)
	v_cmp_lt_i64_e32 vcc_lo, v[5:6], v[3:4]
	s_delay_alu instid0(VALU_DEP_2) | instskip(SKIP_1) | instid1(SALU_CYCLE_1)
	s_bitcmp1_b32 s10, 0
	s_cselect_b32 s10, -1, 0
	s_and_b32 s15, s2, s10
	v_dual_cndmask_b32 v4, v4, v6 :: v_dual_cndmask_b32 v3, v3, v5
	ds_bpermute_b32 v4, v18, v4
	ds_bpermute_b32 v3, v18, v3
	s_and_saveexec_b32 s10, s15
	s_cbranch_execz .LBB19_17
; %bb.16:                               ;   in Loop: Header=BB19_7 Depth=1
	ds_load_b32 v5, v16 offset:1024
	s_waitcnt lgkmcnt(0)
	v_add_nc_u32_e32 v5, 1, v5
	ds_store_b32 v16, v5 offset:1024
.LBB19_17:                              ;   in Loop: Header=BB19_7 Depth=1
	s_or_b32 exec_lo, exec_lo, s10
	ds_store_b32 v17, v23
	s_waitcnt lgkmcnt(0)
	s_barrier
	buffer_gl0_inv
	s_and_saveexec_b32 s10, s3
	s_cbranch_execz .LBB19_19
; %bb.18:                               ;   in Loop: Header=BB19_7 Depth=1
	ds_load_2addr_stride64_b32 v[5:6], v17 offset1:2
	s_waitcnt lgkmcnt(0)
	v_min_i32_e32 v5, v6, v5
	ds_store_b32 v17, v5
.LBB19_19:                              ;   in Loop: Header=BB19_7 Depth=1
	s_or_b32 exec_lo, exec_lo, s10
	s_waitcnt lgkmcnt(0)
	s_barrier
	buffer_gl0_inv
	s_and_saveexec_b32 s10, s4
	s_cbranch_execz .LBB19_21
; %bb.20:                               ;   in Loop: Header=BB19_7 Depth=1
	ds_load_2addr_stride64_b32 v[5:6], v17 offset1:1
	s_waitcnt lgkmcnt(0)
	v_min_i32_e32 v5, v6, v5
	ds_store_b32 v17, v5
.LBB19_21:                              ;   in Loop: Header=BB19_7 Depth=1
	s_or_b32 exec_lo, exec_lo, s10
	s_waitcnt lgkmcnt(0)
	s_barrier
	buffer_gl0_inv
	s_and_saveexec_b32 s10, s5
	s_cbranch_execz .LBB19_23
; %bb.22:                               ;   in Loop: Header=BB19_7 Depth=1
	ds_load_2addr_b32 v[5:6], v17 offset1:32
	s_waitcnt lgkmcnt(0)
	v_min_i32_e32 v5, v6, v5
	ds_store_b32 v17, v5
.LBB19_23:                              ;   in Loop: Header=BB19_7 Depth=1
	s_or_b32 exec_lo, exec_lo, s10
	s_waitcnt lgkmcnt(0)
	s_barrier
	buffer_gl0_inv
	s_and_saveexec_b32 s10, s6
	s_cbranch_execz .LBB19_25
; %bb.24:                               ;   in Loop: Header=BB19_7 Depth=1
	ds_load_2addr_b32 v[5:6], v17 offset1:16
	s_waitcnt lgkmcnt(0)
	v_min_i32_e32 v5, v6, v5
	ds_store_b32 v17, v5
.LBB19_25:                              ;   in Loop: Header=BB19_7 Depth=1
	s_or_b32 exec_lo, exec_lo, s10
	s_waitcnt lgkmcnt(0)
	s_barrier
	buffer_gl0_inv
	s_and_saveexec_b32 s10, s7
	s_cbranch_execz .LBB19_27
; %bb.26:                               ;   in Loop: Header=BB19_7 Depth=1
	ds_load_2addr_b32 v[5:6], v17 offset1:8
	s_waitcnt lgkmcnt(0)
	v_min_i32_e32 v5, v6, v5
	ds_store_b32 v17, v5
.LBB19_27:                              ;   in Loop: Header=BB19_7 Depth=1
	s_or_b32 exec_lo, exec_lo, s10
	s_waitcnt lgkmcnt(0)
	s_barrier
	buffer_gl0_inv
	s_and_saveexec_b32 s10, s8
	s_cbranch_execz .LBB19_29
; %bb.28:                               ;   in Loop: Header=BB19_7 Depth=1
	ds_load_2addr_b32 v[5:6], v17 offset1:4
	s_waitcnt lgkmcnt(0)
	v_min_i32_e32 v5, v6, v5
	ds_store_b32 v17, v5
.LBB19_29:                              ;   in Loop: Header=BB19_7 Depth=1
	s_or_b32 exec_lo, exec_lo, s10
	s_waitcnt lgkmcnt(0)
	s_barrier
	buffer_gl0_inv
	s_and_saveexec_b32 s10, s9
	s_cbranch_execz .LBB19_31
; %bb.30:                               ;   in Loop: Header=BB19_7 Depth=1
	ds_load_2addr_b32 v[5:6], v17 offset1:2
	s_waitcnt lgkmcnt(0)
	v_min_i32_e32 v5, v6, v5
	ds_store_b32 v17, v5
.LBB19_31:                              ;   in Loop: Header=BB19_7 Depth=1
	s_or_b32 exec_lo, exec_lo, s10
	s_waitcnt lgkmcnt(0)
	s_barrier
	buffer_gl0_inv
	s_and_saveexec_b32 s10, s2
	s_cbranch_execz .LBB19_6
; %bb.32:                               ;   in Loop: Header=BB19_7 Depth=1
	ds_load_b64 v[5:6], v16
	s_waitcnt lgkmcnt(0)
	v_min_i32_e32 v5, v6, v5
	ds_store_b32 v16, v5
	s_branch .LBB19_6
.LBB19_33:
	s_mov_b32 s2, exec_lo
	v_cmpx_eq_u32_e32 0, v0
	s_cbranch_execz .LBB19_35
; %bb.34:
	s_load_b32 s2, s[0:1], 0x28
	v_mov_b32_e32 v1, 0
	s_load_b64 s[0:1], s[0:1], 0x30
	s_ashr_i32 s17, s16, 31
	s_waitcnt lgkmcnt(0)
	v_mov_b32_e32 v0, s2
	ds_load_b32 v2, v1 offset:1024
	s_lshl_b64 s[2:3], s[16:17], 3
	s_delay_alu instid0(SALU_CYCLE_1)
	s_add_u32 s2, s0, s2
	s_addc_u32 s3, s1, s3
	s_waitcnt lgkmcnt(0)
	v_ashrrev_i32_e32 v3, 31, v2
	s_clause 0x1
	global_store_b64 v1, v[0:1], s[0:1]
	global_store_b64 v1, v[2:3], s[2:3] offset:8
.LBB19_35:
	s_nop 0
	s_sendmsg sendmsg(MSG_DEALLOC_VGPRS)
	s_endpgm
	.section	.rodata,"a",@progbits
	.p2align	6, 0x0
	.amdhsa_kernel _ZN9rocsparseL42csr2bsr_nnz_block_per_row_multipass_kernelILj256ELj64EliEEvT2_S1_S1_S1_S1_21rocsparse_index_base_PKT1_PKS1_S2_PS3_
		.amdhsa_group_segment_fixed_size 1032
		.amdhsa_private_segment_fixed_size 0
		.amdhsa_kernarg_size 56
		.amdhsa_user_sgpr_count 15
		.amdhsa_user_sgpr_dispatch_ptr 0
		.amdhsa_user_sgpr_queue_ptr 0
		.amdhsa_user_sgpr_kernarg_segment_ptr 1
		.amdhsa_user_sgpr_dispatch_id 0
		.amdhsa_user_sgpr_private_segment_size 0
		.amdhsa_wavefront_size32 1
		.amdhsa_uses_dynamic_stack 0
		.amdhsa_enable_private_segment 0
		.amdhsa_system_sgpr_workgroup_id_x 1
		.amdhsa_system_sgpr_workgroup_id_y 0
		.amdhsa_system_sgpr_workgroup_id_z 0
		.amdhsa_system_sgpr_workgroup_info 0
		.amdhsa_system_vgpr_workitem_id 0
		.amdhsa_next_free_vgpr 25
		.amdhsa_next_free_sgpr 21
		.amdhsa_reserve_vcc 1
		.amdhsa_float_round_mode_32 0
		.amdhsa_float_round_mode_16_64 0
		.amdhsa_float_denorm_mode_32 3
		.amdhsa_float_denorm_mode_16_64 3
		.amdhsa_dx10_clamp 1
		.amdhsa_ieee_mode 1
		.amdhsa_fp16_overflow 0
		.amdhsa_workgroup_processor_mode 1
		.amdhsa_memory_ordered 1
		.amdhsa_forward_progress 0
		.amdhsa_shared_vgpr_count 0
		.amdhsa_exception_fp_ieee_invalid_op 0
		.amdhsa_exception_fp_denorm_src 0
		.amdhsa_exception_fp_ieee_div_zero 0
		.amdhsa_exception_fp_ieee_overflow 0
		.amdhsa_exception_fp_ieee_underflow 0
		.amdhsa_exception_fp_ieee_inexact 0
		.amdhsa_exception_int_div_zero 0
	.end_amdhsa_kernel
	.section	.text._ZN9rocsparseL42csr2bsr_nnz_block_per_row_multipass_kernelILj256ELj64EliEEvT2_S1_S1_S1_S1_21rocsparse_index_base_PKT1_PKS1_S2_PS3_,"axG",@progbits,_ZN9rocsparseL42csr2bsr_nnz_block_per_row_multipass_kernelILj256ELj64EliEEvT2_S1_S1_S1_S1_21rocsparse_index_base_PKT1_PKS1_S2_PS3_,comdat
.Lfunc_end19:
	.size	_ZN9rocsparseL42csr2bsr_nnz_block_per_row_multipass_kernelILj256ELj64EliEEvT2_S1_S1_S1_S1_21rocsparse_index_base_PKT1_PKS1_S2_PS3_, .Lfunc_end19-_ZN9rocsparseL42csr2bsr_nnz_block_per_row_multipass_kernelILj256ELj64EliEEvT2_S1_S1_S1_S1_21rocsparse_index_base_PKT1_PKS1_S2_PS3_
                                        ; -- End function
	.section	.AMDGPU.csdata,"",@progbits
; Kernel info:
; codeLenInByte = 1652
; NumSgprs: 23
; NumVgprs: 25
; ScratchSize: 0
; MemoryBound: 0
; FloatMode: 240
; IeeeMode: 1
; LDSByteSize: 1032 bytes/workgroup (compile time only)
; SGPRBlocks: 2
; VGPRBlocks: 3
; NumSGPRsForWavesPerEU: 23
; NumVGPRsForWavesPerEU: 25
; Occupancy: 16
; WaveLimiterHint : 0
; COMPUTE_PGM_RSRC2:SCRATCH_EN: 0
; COMPUTE_PGM_RSRC2:USER_SGPR: 15
; COMPUTE_PGM_RSRC2:TRAP_HANDLER: 0
; COMPUTE_PGM_RSRC2:TGID_X_EN: 1
; COMPUTE_PGM_RSRC2:TGID_Y_EN: 0
; COMPUTE_PGM_RSRC2:TGID_Z_EN: 0
; COMPUTE_PGM_RSRC2:TIDIG_COMP_CNT: 0
	.section	.text._ZN9rocsparseL25csr2bsr_nnz_65_inf_kernelILj32EliEEvT1_S1_S1_S1_S1_S1_21rocsparse_index_base_PKT0_PKS1_S2_PS3_S8_,"axG",@progbits,_ZN9rocsparseL25csr2bsr_nnz_65_inf_kernelILj32EliEEvT1_S1_S1_S1_S1_S1_21rocsparse_index_base_PKT0_PKS1_S2_PS3_S8_,comdat
	.globl	_ZN9rocsparseL25csr2bsr_nnz_65_inf_kernelILj32EliEEvT1_S1_S1_S1_S1_S1_21rocsparse_index_base_PKT0_PKS1_S2_PS3_S8_ ; -- Begin function _ZN9rocsparseL25csr2bsr_nnz_65_inf_kernelILj32EliEEvT1_S1_S1_S1_S1_S1_21rocsparse_index_base_PKT0_PKS1_S2_PS3_S8_
	.p2align	8
	.type	_ZN9rocsparseL25csr2bsr_nnz_65_inf_kernelILj32EliEEvT1_S1_S1_S1_S1_S1_21rocsparse_index_base_PKT0_PKS1_S2_PS3_S8_,@function
_ZN9rocsparseL25csr2bsr_nnz_65_inf_kernelILj32EliEEvT1_S1_S1_S1_S1_S1_21rocsparse_index_base_PKT0_PKS1_S2_PS3_S8_: ; @_ZN9rocsparseL25csr2bsr_nnz_65_inf_kernelILj32EliEEvT1_S1_S1_S1_S1_S1_21rocsparse_index_base_PKT0_PKS1_S2_PS3_S8_
; %bb.0:
	s_clause 0x2
	s_load_b128 s[4:7], s[0:1], 0x8
	s_load_b64 s[2:3], s[0:1], 0x40
	s_load_b32 s9, s[0:1], 0x18
	s_mov_b32 s13, 0
	s_mov_b32 s8, s15
	s_waitcnt lgkmcnt(0)
	v_mul_lo_u32 v1, v0, s7
	s_mul_i32 s10, s15, s7
	s_delay_alu instid0(SALU_CYCLE_1) | instskip(NEXT) | instid1(SALU_CYCLE_1)
	s_lshl_b32 s12, s10, 6
	s_lshl_b64 s[10:11], s[12:13], 3
	s_delay_alu instid0(SALU_CYCLE_1) | instskip(NEXT) | instid1(VALU_DEP_1)
	s_add_u32 s17, s2, s10
	v_ashrrev_i32_e32 v2, 31, v1
	s_addc_u32 s18, s3, s11
	s_lshl_b32 s12, s7, 5
	s_cmp_gt_i32 s7, 0
	s_cselect_b32 s16, -1, 0
	v_lshlrev_b64 v[3:4], 3, v[1:2]
	s_cmp_lt_i32 s7, 1
	s_delay_alu instid0(VALU_DEP_1) | instskip(NEXT) | instid1(VALU_DEP_2)
	v_add_co_u32 v1, vcc_lo, s17, v3
	v_add_co_ci_u32_e32 v2, vcc_lo, s18, v4, vcc_lo
	s_cbranch_scc1 .LBB20_5
; %bb.1:
	s_clause 0x1
	s_load_b64 s[10:11], s[0:1], 0x20
	s_load_b32 s19, s[0:1], 0x0
	s_mov_b32 s2, s13
	s_mov_b32 s3, s13
	v_dual_mov_b32 v13, v0 :: v_dual_mov_b32 v8, v2
	v_dual_mov_b32 v6, s3 :: v_dual_mov_b32 v5, s2
	v_mov_b32_e32 v7, v1
	s_mul_i32 s20, s8, s6
	s_lshl_b64 s[14:15], s[12:13], 3
	s_mov_b32 s21, s7
	s_set_inst_prefetch_distance 0x1
	s_branch .LBB20_3
	.p2align	6
.LBB20_2:                               ;   in Loop: Header=BB20_3 Depth=1
	s_or_b32 exec_lo, exec_lo, s2
	v_add_co_u32 v7, vcc_lo, v7, 8
	v_add_co_ci_u32_e32 v8, vcc_lo, 0, v8, vcc_lo
	v_add_nc_u32_e32 v13, 32, v13
	s_add_i32 s21, s21, -1
	s_delay_alu instid0(SALU_CYCLE_1)
	s_cmp_eq_u32 s21, 0
	s_cbranch_scc1 .LBB20_5
.LBB20_3:                               ; =>This Inner Loop Header: Depth=1
	s_delay_alu instid0(VALU_DEP_1) | instskip(SKIP_2) | instid1(VALU_DEP_1)
	v_add_nc_u32_e32 v11, s20, v13
	v_cmp_gt_u32_e32 vcc_lo, s6, v13
	v_add_co_u32 v9, s3, v7, s14
	v_add_co_ci_u32_e64 v10, s3, s15, v8, s3
	s_waitcnt lgkmcnt(0)
	v_cmp_gt_i32_e64 s2, s19, v11
	s_clause 0x1
	global_store_b64 v[7:8], v[5:6], off
	global_store_b64 v[9:10], v[5:6], off
	s_and_b32 s3, vcc_lo, s2
	s_delay_alu instid0(SALU_CYCLE_1)
	s_and_saveexec_b32 s2, s3
	s_cbranch_execz .LBB20_2
; %bb.4:                                ;   in Loop: Header=BB20_3 Depth=1
	v_ashrrev_i32_e32 v12, 31, v11
	s_delay_alu instid0(VALU_DEP_1) | instskip(NEXT) | instid1(VALU_DEP_1)
	v_lshlrev_b64 v[11:12], 3, v[11:12]
	v_add_co_u32 v11, vcc_lo, s10, v11
	s_delay_alu instid0(VALU_DEP_2)
	v_add_co_ci_u32_e32 v12, vcc_lo, s11, v12, vcc_lo
	global_load_b128 v[14:17], v[11:12], off
	s_waitcnt vmcnt(0)
	v_sub_co_u32 v11, vcc_lo, v14, s9
	v_subrev_co_ci_u32_e32 v12, vcc_lo, 0, v15, vcc_lo
	v_sub_co_u32 v14, vcc_lo, v16, s9
	v_subrev_co_ci_u32_e32 v15, vcc_lo, 0, v17, vcc_lo
	s_clause 0x1
	global_store_b64 v[7:8], v[11:12], off
	global_store_b64 v[9:10], v[14:15], off
	s_branch .LBB20_2
.LBB20_5:
	s_set_inst_prefetch_distance 0x2
	s_load_b64 s[10:11], s[0:1], 0x38
	v_cmp_eq_u32_e64 s2, 31, v0
	s_cmp_lt_i32 s5, 1
	s_cbranch_scc1 .LBB20_20
; %bb.6:
	s_lshl_b64 s[12:13], s[12:13], 3
	v_mbcnt_lo_u32_b32 v6, -1, 0
	s_add_u32 s3, s17, s12
	s_addc_u32 s14, s18, s13
	s_abs_i32 s17, s6
	v_add_co_u32 v15, vcc_lo, s3, v3
	v_cvt_f32_u32_e32 v5, s17
	v_xor_b32_e32 v3, 16, v6
	v_add_co_ci_u32_e32 v16, vcc_lo, s14, v4, vcc_lo
	v_xor_b32_e32 v4, 8, v6
	s_delay_alu instid0(VALU_DEP_4) | instskip(NEXT) | instid1(VALU_DEP_3)
	v_rcp_iflag_f32_e32 v5, v5
	v_cmp_gt_i32_e32 vcc_lo, 32, v3
	v_xor_b32_e32 v7, 4, v6
	v_xor_b32_e32 v8, 2, v6
	s_sub_i32 s3, 0, s17
	s_load_b64 s[12:13], s[0:1], 0x28
	v_cndmask_b32_e32 v3, v6, v3, vcc_lo
	v_cmp_gt_i32_e32 vcc_lo, 32, v4
	v_xor_b32_e32 v9, 1, v6
	v_dual_mov_b32 v14, 0x7c :: v_dual_mov_b32 v17, 0
	v_dual_mul_f32 v5, 0x4f7ffffe, v5 :: v_dual_cndmask_b32 v4, v6, v4
	v_cmp_gt_i32_e32 vcc_lo, 32, v7
	s_mov_b32 s15, 0
	s_ashr_i32 s18, s6, 31
	s_delay_alu instid0(VALU_DEP_2)
	v_cvt_u32_f32_e32 v5, v5
	s_mov_b32 s6, 0
	v_cndmask_b32_e32 v7, v6, v7, vcc_lo
	v_cmp_gt_i32_e32 vcc_lo, 32, v8
	v_lshlrev_b32_e32 v19, 2, v4
	v_mul_lo_u32 v10, s3, v5
	s_delay_alu instid0(VALU_DEP_4) | instskip(NEXT) | instid1(VALU_DEP_2)
	v_lshlrev_b32_e32 v20, 2, v7
	v_mul_hi_u32 v10, v5, v10
	v_cndmask_b32_e32 v8, v6, v8, vcc_lo
	v_cmp_gt_i32_e32 vcc_lo, 32, v9
	s_delay_alu instid0(VALU_DEP_3) | instskip(NEXT) | instid1(VALU_DEP_3)
	v_dual_cndmask_b32 v6, v6, v9 :: v_dual_add_nc_u32 v23, v5, v10
	v_lshlrev_b32_e32 v21, 2, v8
	s_delay_alu instid0(VALU_DEP_2)
	v_lshlrev_b32_e32 v22, 2, v6
	v_dual_mov_b32 v3, 0 :: v_dual_lshlrev_b32 v18, 2, v3
	s_branch .LBB20_8
.LBB20_7:                               ;   in Loop: Header=BB20_8 Depth=1
	ds_bpermute_b32 v4, v18, v24
	s_waitcnt lgkmcnt(0)
	v_min_i32_e32 v4, v4, v24
	ds_bpermute_b32 v5, v19, v4
	s_waitcnt lgkmcnt(0)
	v_min_i32_e32 v4, v5, v4
	;; [unrolled: 3-line block ×5, first 2 shown]
	ds_bpermute_b32 v4, v14, v4
	s_waitcnt lgkmcnt(0)
	v_cmp_gt_i32_e32 vcc_lo, s5, v4
	v_add_nc_u32_e32 v17, 1, v4
	s_and_b32 s3, s2, vcc_lo
	s_delay_alu instid0(VALU_DEP_1) | instskip(SKIP_2) | instid1(VALU_DEP_1)
	v_cmp_le_i32_e32 vcc_lo, s5, v17
	v_cndmask_b32_e64 v4, 0, 1, s3
	s_or_b32 s6, vcc_lo, s6
	v_add_nc_u32_e32 v3, v3, v4
	s_and_not1_b32 exec_lo, exec_lo, s6
	s_cbranch_execz .LBB20_19
.LBB20_8:                               ; =>This Loop Header: Depth=1
                                        ;     Child Loop BB20_12 Depth 2
                                        ;       Child Loop BB20_15 Depth 3
	v_mov_b32_e32 v24, s5
	s_and_not1_b32 vcc_lo, exec_lo, s16
	s_cbranch_vccnz .LBB20_7
; %bb.9:                                ;   in Loop: Header=BB20_8 Depth=1
	v_mov_b32_e32 v24, s5
	s_mov_b32 s14, 0
	s_branch .LBB20_12
.LBB20_10:                              ;   in Loop: Header=BB20_12 Depth=2
	s_or_b32 exec_lo, exec_lo, s3
.LBB20_11:                              ;   in Loop: Header=BB20_12 Depth=2
	s_delay_alu instid0(SALU_CYCLE_1) | instskip(SKIP_1) | instid1(SALU_CYCLE_1)
	s_or_b32 exec_lo, exec_lo, s19
	s_add_i32 s14, s14, 1
	s_cmp_eq_u32 s14, s7
	s_cbranch_scc1 .LBB20_7
.LBB20_12:                              ;   Parent Loop BB20_8 Depth=1
                                        ; =>  This Loop Header: Depth=2
                                        ;       Child Loop BB20_15 Depth 3
	s_lshl_b64 s[20:21], s[14:15], 3
	s_mov_b32 s19, exec_lo
	v_add_co_u32 v4, vcc_lo, v1, s20
	v_add_co_ci_u32_e32 v5, vcc_lo, s21, v2, vcc_lo
	v_add_co_u32 v6, vcc_lo, v15, s20
	v_add_co_ci_u32_e32 v7, vcc_lo, s21, v16, vcc_lo
	s_clause 0x1
	global_load_b64 v[8:9], v[4:5], off
	global_load_b64 v[6:7], v[6:7], off
	s_waitcnt vmcnt(0)
	v_cmpx_lt_i64_e64 v[8:9], v[6:7]
	s_cbranch_execz .LBB20_11
; %bb.13:                               ;   in Loop: Header=BB20_12 Depth=2
	v_lshlrev_b64 v[10:11], 2, v[8:9]
	s_mov_b32 s20, 0
                                        ; implicit-def: $sgpr21
                                        ; implicit-def: $sgpr23
                                        ; implicit-def: $sgpr22
	s_waitcnt lgkmcnt(0)
	s_delay_alu instid0(VALU_DEP_1) | instskip(NEXT) | instid1(VALU_DEP_2)
	v_add_co_u32 v10, vcc_lo, s12, v10
	v_add_co_ci_u32_e32 v11, vcc_lo, s13, v11, vcc_lo
	s_branch .LBB20_15
.LBB20_14:                              ;   in Loop: Header=BB20_15 Depth=3
	s_or_b32 exec_lo, exec_lo, s24
	s_delay_alu instid0(SALU_CYCLE_1) | instskip(NEXT) | instid1(SALU_CYCLE_1)
	s_and_b32 s3, exec_lo, s23
	s_or_b32 s20, s3, s20
	s_and_not1_b32 s3, s21, exec_lo
	s_and_b32 s21, s22, exec_lo
	s_delay_alu instid0(SALU_CYCLE_1)
	s_or_b32 s21, s3, s21
	s_and_not1_b32 exec_lo, exec_lo, s20
	s_cbranch_execz .LBB20_17
.LBB20_15:                              ;   Parent Loop BB20_8 Depth=1
                                        ;     Parent Loop BB20_12 Depth=2
                                        ; =>    This Inner Loop Header: Depth=3
	global_load_b32 v12, v[10:11], off
	s_or_b32 s22, s22, exec_lo
	s_or_b32 s23, s23, exec_lo
	s_mov_b32 s24, exec_lo
	s_waitcnt vmcnt(0)
	v_subrev_nc_u32_e32 v12, s9, v12
	s_delay_alu instid0(VALU_DEP_1) | instskip(NEXT) | instid1(VALU_DEP_1)
	v_sub_nc_u32_e32 v13, 0, v12
	v_max_i32_e32 v13, v12, v13
	v_ashrrev_i32_e32 v12, 31, v12
	s_delay_alu instid0(VALU_DEP_2) | instskip(NEXT) | instid1(VALU_DEP_2)
	v_mul_hi_u32 v25, v13, v23
	v_xor_b32_e32 v12, s18, v12
	s_delay_alu instid0(VALU_DEP_2) | instskip(NEXT) | instid1(VALU_DEP_1)
	v_mul_lo_u32 v26, v25, s17
	v_sub_nc_u32_e32 v13, v13, v26
	s_delay_alu instid0(VALU_DEP_1) | instskip(SKIP_1) | instid1(VALU_DEP_2)
	v_subrev_nc_u32_e32 v27, s17, v13
	v_cmp_le_u32_e32 vcc_lo, s17, v13
	v_dual_cndmask_b32 v13, v13, v27 :: v_dual_add_nc_u32 v26, 1, v25
	s_delay_alu instid0(VALU_DEP_1) | instskip(NEXT) | instid1(VALU_DEP_2)
	v_cndmask_b32_e32 v25, v25, v26, vcc_lo
	v_cmp_le_u32_e32 vcc_lo, s17, v13
	s_delay_alu instid0(VALU_DEP_2) | instskip(NEXT) | instid1(VALU_DEP_1)
	v_add_nc_u32_e32 v26, 1, v25
	v_cndmask_b32_e32 v13, v25, v26, vcc_lo
	s_delay_alu instid0(VALU_DEP_1) | instskip(NEXT) | instid1(VALU_DEP_1)
	v_xor_b32_e32 v13, v13, v12
	v_sub_nc_u32_e32 v25, v13, v12
	v_dual_mov_b32 v13, v9 :: v_dual_mov_b32 v12, v8
                                        ; implicit-def: $vgpr8_vgpr9
	s_delay_alu instid0(VALU_DEP_2)
	v_cmpx_lt_i32_e64 v25, v17
	s_cbranch_execz .LBB20_14
; %bb.16:                               ;   in Loop: Header=BB20_15 Depth=3
	s_delay_alu instid0(VALU_DEP_2) | instskip(NEXT) | instid1(VALU_DEP_3)
	v_add_co_u32 v8, vcc_lo, v12, 1
	v_add_co_ci_u32_e32 v9, vcc_lo, 0, v13, vcc_lo
	v_add_co_u32 v10, s3, v10, 4
	s_delay_alu instid0(VALU_DEP_1) | instskip(NEXT) | instid1(VALU_DEP_3)
	v_add_co_ci_u32_e64 v11, s3, 0, v11, s3
	v_cmp_ge_i64_e32 vcc_lo, v[8:9], v[6:7]
	s_and_not1_b32 s3, s23, exec_lo
	s_and_not1_b32 s22, s22, exec_lo
	s_and_b32 s23, vcc_lo, exec_lo
	s_delay_alu instid0(SALU_CYCLE_1)
	s_or_b32 s23, s3, s23
	s_branch .LBB20_14
.LBB20_17:                              ;   in Loop: Header=BB20_12 Depth=2
	s_or_b32 exec_lo, exec_lo, s20
	s_and_saveexec_b32 s3, s21
	s_delay_alu instid0(SALU_CYCLE_1)
	s_xor_b32 s3, exec_lo, s3
	s_cbranch_execz .LBB20_10
; %bb.18:                               ;   in Loop: Header=BB20_12 Depth=2
	v_min_i32_e32 v24, v25, v24
	global_store_b64 v[4:5], v[12:13], off
	s_branch .LBB20_10
.LBB20_19:
	s_or_b32 exec_lo, exec_lo, s6
	v_mov_b32_e32 v4, 0
	s_branch .LBB20_21
.LBB20_20:
	v_mov_b32_e32 v3, 0
	v_mov_b32_e32 v4, 0
.LBB20_21:
	v_cmp_eq_u32_e32 vcc_lo, 31, v0
	s_cmp_lt_i32 s8, s4
	s_cselect_b32 s2, -1, 0
	s_delay_alu instid0(SALU_CYCLE_1) | instskip(NEXT) | instid1(SALU_CYCLE_1)
	s_and_b32 s2, vcc_lo, s2
	s_and_saveexec_b32 s3, s2
	s_cbranch_execz .LBB20_23
; %bb.22:
	s_load_b32 s0, s[0:1], 0x30
	s_ashr_i32 s9, s8, 31
	s_waitcnt lgkmcnt(0)
	v_dual_mov_b32 v1, 0 :: v_dual_mov_b32 v0, s0
	s_lshl_b64 s[0:1], s[8:9], 3
	s_delay_alu instid0(SALU_CYCLE_1)
	s_add_u32 s0, s10, s0
	s_addc_u32 s1, s11, s1
	s_clause 0x1
	global_store_b64 v1, v[0:1], s[10:11]
	global_store_b64 v1, v[3:4], s[0:1] offset:8
.LBB20_23:
	s_nop 0
	s_sendmsg sendmsg(MSG_DEALLOC_VGPRS)
	s_endpgm
	.section	.rodata,"a",@progbits
	.p2align	6, 0x0
	.amdhsa_kernel _ZN9rocsparseL25csr2bsr_nnz_65_inf_kernelILj32EliEEvT1_S1_S1_S1_S1_S1_21rocsparse_index_base_PKT0_PKS1_S2_PS3_S8_
		.amdhsa_group_segment_fixed_size 0
		.amdhsa_private_segment_fixed_size 0
		.amdhsa_kernarg_size 72
		.amdhsa_user_sgpr_count 15
		.amdhsa_user_sgpr_dispatch_ptr 0
		.amdhsa_user_sgpr_queue_ptr 0
		.amdhsa_user_sgpr_kernarg_segment_ptr 1
		.amdhsa_user_sgpr_dispatch_id 0
		.amdhsa_user_sgpr_private_segment_size 0
		.amdhsa_wavefront_size32 1
		.amdhsa_uses_dynamic_stack 0
		.amdhsa_enable_private_segment 0
		.amdhsa_system_sgpr_workgroup_id_x 1
		.amdhsa_system_sgpr_workgroup_id_y 0
		.amdhsa_system_sgpr_workgroup_id_z 0
		.amdhsa_system_sgpr_workgroup_info 0
		.amdhsa_system_vgpr_workitem_id 0
		.amdhsa_next_free_vgpr 28
		.amdhsa_next_free_sgpr 25
		.amdhsa_reserve_vcc 1
		.amdhsa_float_round_mode_32 0
		.amdhsa_float_round_mode_16_64 0
		.amdhsa_float_denorm_mode_32 3
		.amdhsa_float_denorm_mode_16_64 3
		.amdhsa_dx10_clamp 1
		.amdhsa_ieee_mode 1
		.amdhsa_fp16_overflow 0
		.amdhsa_workgroup_processor_mode 1
		.amdhsa_memory_ordered 1
		.amdhsa_forward_progress 0
		.amdhsa_shared_vgpr_count 0
		.amdhsa_exception_fp_ieee_invalid_op 0
		.amdhsa_exception_fp_denorm_src 0
		.amdhsa_exception_fp_ieee_div_zero 0
		.amdhsa_exception_fp_ieee_overflow 0
		.amdhsa_exception_fp_ieee_underflow 0
		.amdhsa_exception_fp_ieee_inexact 0
		.amdhsa_exception_int_div_zero 0
	.end_amdhsa_kernel
	.section	.text._ZN9rocsparseL25csr2bsr_nnz_65_inf_kernelILj32EliEEvT1_S1_S1_S1_S1_S1_21rocsparse_index_base_PKT0_PKS1_S2_PS3_S8_,"axG",@progbits,_ZN9rocsparseL25csr2bsr_nnz_65_inf_kernelILj32EliEEvT1_S1_S1_S1_S1_S1_21rocsparse_index_base_PKT0_PKS1_S2_PS3_S8_,comdat
.Lfunc_end20:
	.size	_ZN9rocsparseL25csr2bsr_nnz_65_inf_kernelILj32EliEEvT1_S1_S1_S1_S1_S1_21rocsparse_index_base_PKT0_PKS1_S2_PS3_S8_, .Lfunc_end20-_ZN9rocsparseL25csr2bsr_nnz_65_inf_kernelILj32EliEEvT1_S1_S1_S1_S1_S1_21rocsparse_index_base_PKT0_PKS1_S2_PS3_S8_
                                        ; -- End function
	.section	.AMDGPU.csdata,"",@progbits
; Kernel info:
; codeLenInByte = 1348
; NumSgprs: 27
; NumVgprs: 28
; ScratchSize: 0
; MemoryBound: 0
; FloatMode: 240
; IeeeMode: 1
; LDSByteSize: 0 bytes/workgroup (compile time only)
; SGPRBlocks: 3
; VGPRBlocks: 3
; NumSGPRsForWavesPerEU: 27
; NumVGPRsForWavesPerEU: 28
; Occupancy: 16
; WaveLimiterHint : 0
; COMPUTE_PGM_RSRC2:SCRATCH_EN: 0
; COMPUTE_PGM_RSRC2:USER_SGPR: 15
; COMPUTE_PGM_RSRC2:TRAP_HANDLER: 0
; COMPUTE_PGM_RSRC2:TGID_X_EN: 1
; COMPUTE_PGM_RSRC2:TGID_Y_EN: 0
; COMPUTE_PGM_RSRC2:TGID_Z_EN: 0
; COMPUTE_PGM_RSRC2:TIDIG_COMP_CNT: 0
	.section	.text._ZN9rocsparseL36csr2bsr_nnz_compute_nnz_total_kernelILj1EliEEvT1_PKT0_PS2_,"axG",@progbits,_ZN9rocsparseL36csr2bsr_nnz_compute_nnz_total_kernelILj1EliEEvT1_PKT0_PS2_,comdat
	.globl	_ZN9rocsparseL36csr2bsr_nnz_compute_nnz_total_kernelILj1EliEEvT1_PKT0_PS2_ ; -- Begin function _ZN9rocsparseL36csr2bsr_nnz_compute_nnz_total_kernelILj1EliEEvT1_PKT0_PS2_
	.p2align	8
	.type	_ZN9rocsparseL36csr2bsr_nnz_compute_nnz_total_kernelILj1EliEEvT1_PKT0_PS2_,@function
_ZN9rocsparseL36csr2bsr_nnz_compute_nnz_total_kernelILj1EliEEvT1_PKT0_PS2_: ; @_ZN9rocsparseL36csr2bsr_nnz_compute_nnz_total_kernelILj1EliEEvT1_PKT0_PS2_
; %bb.0:
	s_sub_i32 s2, 0, s15
	s_delay_alu instid0(SALU_CYCLE_1)
	s_cmp_lg_u32 s2, 0
	s_cbranch_scc1 .LBB21_2
; %bb.1:
	s_clause 0x1
	s_load_b32 s4, s[0:1], 0x0
	s_load_b128 s[0:3], s[0:1], 0x8
	s_waitcnt lgkmcnt(0)
	s_ashr_i32 s5, s4, 31
	s_delay_alu instid0(SALU_CYCLE_1) | instskip(NEXT) | instid1(SALU_CYCLE_1)
	s_lshl_b64 s[4:5], s[4:5], 3
	s_add_u32 s4, s0, s4
	s_addc_u32 s5, s1, s5
	s_clause 0x1
	s_load_b64 s[4:5], s[4:5], 0x0
	s_load_b64 s[0:1], s[0:1], 0x0
	s_waitcnt lgkmcnt(0)
	s_sub_u32 s0, s4, s0
	s_subb_u32 s1, s5, s1
	v_mov_b32_e32 v0, s0
	v_dual_mov_b32 v2, 0 :: v_dual_mov_b32 v1, s1
	global_store_b64 v2, v[0:1], s[2:3]
.LBB21_2:
	s_nop 0
	s_sendmsg sendmsg(MSG_DEALLOC_VGPRS)
	s_endpgm
	.section	.rodata,"a",@progbits
	.p2align	6, 0x0
	.amdhsa_kernel _ZN9rocsparseL36csr2bsr_nnz_compute_nnz_total_kernelILj1EliEEvT1_PKT0_PS2_
		.amdhsa_group_segment_fixed_size 0
		.amdhsa_private_segment_fixed_size 0
		.amdhsa_kernarg_size 24
		.amdhsa_user_sgpr_count 15
		.amdhsa_user_sgpr_dispatch_ptr 0
		.amdhsa_user_sgpr_queue_ptr 0
		.amdhsa_user_sgpr_kernarg_segment_ptr 1
		.amdhsa_user_sgpr_dispatch_id 0
		.amdhsa_user_sgpr_private_segment_size 0
		.amdhsa_wavefront_size32 1
		.amdhsa_uses_dynamic_stack 0
		.amdhsa_enable_private_segment 0
		.amdhsa_system_sgpr_workgroup_id_x 1
		.amdhsa_system_sgpr_workgroup_id_y 0
		.amdhsa_system_sgpr_workgroup_id_z 0
		.amdhsa_system_sgpr_workgroup_info 0
		.amdhsa_system_vgpr_workitem_id 0
		.amdhsa_next_free_vgpr 3
		.amdhsa_next_free_sgpr 16
		.amdhsa_reserve_vcc 0
		.amdhsa_float_round_mode_32 0
		.amdhsa_float_round_mode_16_64 0
		.amdhsa_float_denorm_mode_32 3
		.amdhsa_float_denorm_mode_16_64 3
		.amdhsa_dx10_clamp 1
		.amdhsa_ieee_mode 1
		.amdhsa_fp16_overflow 0
		.amdhsa_workgroup_processor_mode 1
		.amdhsa_memory_ordered 1
		.amdhsa_forward_progress 0
		.amdhsa_shared_vgpr_count 0
		.amdhsa_exception_fp_ieee_invalid_op 0
		.amdhsa_exception_fp_denorm_src 0
		.amdhsa_exception_fp_ieee_div_zero 0
		.amdhsa_exception_fp_ieee_overflow 0
		.amdhsa_exception_fp_ieee_underflow 0
		.amdhsa_exception_fp_ieee_inexact 0
		.amdhsa_exception_int_div_zero 0
	.end_amdhsa_kernel
	.section	.text._ZN9rocsparseL36csr2bsr_nnz_compute_nnz_total_kernelILj1EliEEvT1_PKT0_PS2_,"axG",@progbits,_ZN9rocsparseL36csr2bsr_nnz_compute_nnz_total_kernelILj1EliEEvT1_PKT0_PS2_,comdat
.Lfunc_end21:
	.size	_ZN9rocsparseL36csr2bsr_nnz_compute_nnz_total_kernelILj1EliEEvT1_PKT0_PS2_, .Lfunc_end21-_ZN9rocsparseL36csr2bsr_nnz_compute_nnz_total_kernelILj1EliEEvT1_PKT0_PS2_
                                        ; -- End function
	.section	.AMDGPU.csdata,"",@progbits
; Kernel info:
; codeLenInByte = 124
; NumSgprs: 16
; NumVgprs: 3
; ScratchSize: 0
; MemoryBound: 0
; FloatMode: 240
; IeeeMode: 1
; LDSByteSize: 0 bytes/workgroup (compile time only)
; SGPRBlocks: 1
; VGPRBlocks: 0
; NumSGPRsForWavesPerEU: 16
; NumVGPRsForWavesPerEU: 3
; Occupancy: 16
; WaveLimiterHint : 0
; COMPUTE_PGM_RSRC2:SCRATCH_EN: 0
; COMPUTE_PGM_RSRC2:USER_SGPR: 15
; COMPUTE_PGM_RSRC2:TRAP_HANDLER: 0
; COMPUTE_PGM_RSRC2:TGID_X_EN: 1
; COMPUTE_PGM_RSRC2:TGID_Y_EN: 0
; COMPUTE_PGM_RSRC2:TGID_Z_EN: 0
; COMPUTE_PGM_RSRC2:TIDIG_COMP_CNT: 0
	.section	.text._ZN9rocsparseL39csr2bsr_nnz_block_dim_equals_one_kernelILj256EilEEvT1_21rocsparse_index_base_PKT0_S2_PS3_S6_,"axG",@progbits,_ZN9rocsparseL39csr2bsr_nnz_block_dim_equals_one_kernelILj256EilEEvT1_21rocsparse_index_base_PKT0_S2_PS3_S6_,comdat
	.globl	_ZN9rocsparseL39csr2bsr_nnz_block_dim_equals_one_kernelILj256EilEEvT1_21rocsparse_index_base_PKT0_S2_PS3_S6_ ; -- Begin function _ZN9rocsparseL39csr2bsr_nnz_block_dim_equals_one_kernelILj256EilEEvT1_21rocsparse_index_base_PKT0_S2_PS3_S6_
	.p2align	8
	.type	_ZN9rocsparseL39csr2bsr_nnz_block_dim_equals_one_kernelILj256EilEEvT1_21rocsparse_index_base_PKT0_S2_PS3_S6_,@function
_ZN9rocsparseL39csr2bsr_nnz_block_dim_equals_one_kernelILj256EilEEvT1_21rocsparse_index_base_PKT0_S2_PS3_S6_: ; @_ZN9rocsparseL39csr2bsr_nnz_block_dim_equals_one_kernelILj256EilEEvT1_21rocsparse_index_base_PKT0_S2_PS3_S6_
; %bb.0:
	s_clause 0x2
	s_load_b32 s6, s[0:1], 0x3c
	s_load_b64 s[4:5], s[0:1], 0x0
	s_load_b64 s[2:3], s[0:1], 0x10
	s_waitcnt lgkmcnt(0)
	s_and_b32 s6, s6, 0xffff
	s_delay_alu instid0(SALU_CYCLE_1) | instskip(SKIP_2) | instid1(VALU_DEP_1)
	v_mad_u64_u32 v[1:2], null, s15, s6, v[0:1]
	v_mov_b32_e32 v2, 0
	s_mov_b32 s6, exec_lo
	v_cmpx_ge_i64_e64 s[4:5], v[1:2]
	s_cbranch_execz .LBB22_2
; %bb.1:
	v_lshlrev_b64 v[2:3], 2, v[1:2]
	s_delay_alu instid0(VALU_DEP_1) | instskip(NEXT) | instid1(VALU_DEP_2)
	v_add_co_u32 v4, vcc_lo, s2, v2
	v_add_co_ci_u32_e32 v5, vcc_lo, s3, v3, vcc_lo
	global_load_b32 v0, v[4:5], off
	s_clause 0x2
	s_load_b32 s7, s[0:1], 0x8
	s_load_b32 s10, s[0:1], 0x18
	s_load_b64 s[8:9], s[0:1], 0x20
	s_waitcnt lgkmcnt(0)
	s_sub_i32 s7, s10, s7
	v_add_co_u32 v2, vcc_lo, s8, v2
	v_add_co_ci_u32_e32 v3, vcc_lo, s9, v3, vcc_lo
	s_waitcnt vmcnt(0)
	v_add_nc_u32_e32 v0, s7, v0
	global_store_b32 v[2:3], v0, off
.LBB22_2:
	s_or_b32 exec_lo, exec_lo, s6
	s_delay_alu instid0(SALU_CYCLE_1)
	s_mov_b32 s6, exec_lo
	v_cmpx_eq_u32_e32 0, v1
	s_cbranch_execz .LBB22_4
; %bb.3:
	s_lshl_b64 s[4:5], s[4:5], 2
	s_delay_alu instid0(SALU_CYCLE_1)
	s_add_u32 s4, s2, s4
	s_addc_u32 s5, s3, s5
	s_clause 0x1
	s_load_b32 s4, s[4:5], 0x0
	s_load_b32 s2, s[2:3], 0x0
	s_load_b64 s[0:1], s[0:1], 0x28
	s_waitcnt lgkmcnt(0)
	s_sub_i32 s2, s4, s2
	s_delay_alu instid0(SALU_CYCLE_1)
	v_dual_mov_b32 v0, 0 :: v_dual_mov_b32 v1, s2
	global_store_b32 v0, v1, s[0:1]
.LBB22_4:
	s_nop 0
	s_sendmsg sendmsg(MSG_DEALLOC_VGPRS)
	s_endpgm
	.section	.rodata,"a",@progbits
	.p2align	6, 0x0
	.amdhsa_kernel _ZN9rocsparseL39csr2bsr_nnz_block_dim_equals_one_kernelILj256EilEEvT1_21rocsparse_index_base_PKT0_S2_PS3_S6_
		.amdhsa_group_segment_fixed_size 0
		.amdhsa_private_segment_fixed_size 0
		.amdhsa_kernarg_size 304
		.amdhsa_user_sgpr_count 15
		.amdhsa_user_sgpr_dispatch_ptr 0
		.amdhsa_user_sgpr_queue_ptr 0
		.amdhsa_user_sgpr_kernarg_segment_ptr 1
		.amdhsa_user_sgpr_dispatch_id 0
		.amdhsa_user_sgpr_private_segment_size 0
		.amdhsa_wavefront_size32 1
		.amdhsa_uses_dynamic_stack 0
		.amdhsa_enable_private_segment 0
		.amdhsa_system_sgpr_workgroup_id_x 1
		.amdhsa_system_sgpr_workgroup_id_y 0
		.amdhsa_system_sgpr_workgroup_id_z 0
		.amdhsa_system_sgpr_workgroup_info 0
		.amdhsa_system_vgpr_workitem_id 0
		.amdhsa_next_free_vgpr 6
		.amdhsa_next_free_sgpr 16
		.amdhsa_reserve_vcc 1
		.amdhsa_float_round_mode_32 0
		.amdhsa_float_round_mode_16_64 0
		.amdhsa_float_denorm_mode_32 3
		.amdhsa_float_denorm_mode_16_64 3
		.amdhsa_dx10_clamp 1
		.amdhsa_ieee_mode 1
		.amdhsa_fp16_overflow 0
		.amdhsa_workgroup_processor_mode 1
		.amdhsa_memory_ordered 1
		.amdhsa_forward_progress 0
		.amdhsa_shared_vgpr_count 0
		.amdhsa_exception_fp_ieee_invalid_op 0
		.amdhsa_exception_fp_denorm_src 0
		.amdhsa_exception_fp_ieee_div_zero 0
		.amdhsa_exception_fp_ieee_overflow 0
		.amdhsa_exception_fp_ieee_underflow 0
		.amdhsa_exception_fp_ieee_inexact 0
		.amdhsa_exception_int_div_zero 0
	.end_amdhsa_kernel
	.section	.text._ZN9rocsparseL39csr2bsr_nnz_block_dim_equals_one_kernelILj256EilEEvT1_21rocsparse_index_base_PKT0_S2_PS3_S6_,"axG",@progbits,_ZN9rocsparseL39csr2bsr_nnz_block_dim_equals_one_kernelILj256EilEEvT1_21rocsparse_index_base_PKT0_S2_PS3_S6_,comdat
.Lfunc_end22:
	.size	_ZN9rocsparseL39csr2bsr_nnz_block_dim_equals_one_kernelILj256EilEEvT1_21rocsparse_index_base_PKT0_S2_PS3_S6_, .Lfunc_end22-_ZN9rocsparseL39csr2bsr_nnz_block_dim_equals_one_kernelILj256EilEEvT1_21rocsparse_index_base_PKT0_S2_PS3_S6_
                                        ; -- End function
	.section	.AMDGPU.csdata,"",@progbits
; Kernel info:
; codeLenInByte = 272
; NumSgprs: 18
; NumVgprs: 6
; ScratchSize: 0
; MemoryBound: 0
; FloatMode: 240
; IeeeMode: 1
; LDSByteSize: 0 bytes/workgroup (compile time only)
; SGPRBlocks: 2
; VGPRBlocks: 0
; NumSGPRsForWavesPerEU: 18
; NumVGPRsForWavesPerEU: 6
; Occupancy: 16
; WaveLimiterHint : 0
; COMPUTE_PGM_RSRC2:SCRATCH_EN: 0
; COMPUTE_PGM_RSRC2:USER_SGPR: 15
; COMPUTE_PGM_RSRC2:TRAP_HANDLER: 0
; COMPUTE_PGM_RSRC2:TGID_X_EN: 1
; COMPUTE_PGM_RSRC2:TGID_Y_EN: 0
; COMPUTE_PGM_RSRC2:TGID_Z_EN: 0
; COMPUTE_PGM_RSRC2:TIDIG_COMP_CNT: 0
	.section	.text._ZN9rocsparseL39csr2bsr_nnz_block_dim_equals_one_kernelILj256EilEEvT1_21rocsparse_index_base_PKT0_S2_PS3_,"axG",@progbits,_ZN9rocsparseL39csr2bsr_nnz_block_dim_equals_one_kernelILj256EilEEvT1_21rocsparse_index_base_PKT0_S2_PS3_,comdat
	.globl	_ZN9rocsparseL39csr2bsr_nnz_block_dim_equals_one_kernelILj256EilEEvT1_21rocsparse_index_base_PKT0_S2_PS3_ ; -- Begin function _ZN9rocsparseL39csr2bsr_nnz_block_dim_equals_one_kernelILj256EilEEvT1_21rocsparse_index_base_PKT0_S2_PS3_
	.p2align	8
	.type	_ZN9rocsparseL39csr2bsr_nnz_block_dim_equals_one_kernelILj256EilEEvT1_21rocsparse_index_base_PKT0_S2_PS3_,@function
_ZN9rocsparseL39csr2bsr_nnz_block_dim_equals_one_kernelILj256EilEEvT1_21rocsparse_index_base_PKT0_S2_PS3_: ; @_ZN9rocsparseL39csr2bsr_nnz_block_dim_equals_one_kernelILj256EilEEvT1_21rocsparse_index_base_PKT0_S2_PS3_
; %bb.0:
	s_load_b64 s[2:3], s[0:1], 0x0
	v_lshl_or_b32 v0, s15, 8, v0
	v_mov_b32_e32 v1, 0
	s_waitcnt lgkmcnt(0)
	s_delay_alu instid0(VALU_DEP_1)
	v_cmp_ge_i64_e32 vcc_lo, s[2:3], v[0:1]
	s_and_saveexec_b32 s2, vcc_lo
	s_cbranch_execz .LBB23_2
; %bb.1:
	s_load_b64 s[2:3], s[0:1], 0x10
	v_lshlrev_b64 v[0:1], 2, v[0:1]
	s_clause 0x2
	s_load_b32 s4, s[0:1], 0x18
	s_load_b32 s5, s[0:1], 0x8
	s_load_b64 s[0:1], s[0:1], 0x20
	s_waitcnt lgkmcnt(0)
	v_add_co_u32 v2, vcc_lo, s2, v0
	v_add_co_ci_u32_e32 v3, vcc_lo, s3, v1, vcc_lo
	s_sub_i32 s2, s4, s5
	v_add_co_u32 v0, vcc_lo, s0, v0
	global_load_b32 v2, v[2:3], off
	v_add_co_ci_u32_e32 v1, vcc_lo, s1, v1, vcc_lo
	s_waitcnt vmcnt(0)
	v_add_nc_u32_e32 v2, s2, v2
	global_store_b32 v[0:1], v2, off
.LBB23_2:
	s_nop 0
	s_sendmsg sendmsg(MSG_DEALLOC_VGPRS)
	s_endpgm
	.section	.rodata,"a",@progbits
	.p2align	6, 0x0
	.amdhsa_kernel _ZN9rocsparseL39csr2bsr_nnz_block_dim_equals_one_kernelILj256EilEEvT1_21rocsparse_index_base_PKT0_S2_PS3_
		.amdhsa_group_segment_fixed_size 0
		.amdhsa_private_segment_fixed_size 0
		.amdhsa_kernarg_size 40
		.amdhsa_user_sgpr_count 15
		.amdhsa_user_sgpr_dispatch_ptr 0
		.amdhsa_user_sgpr_queue_ptr 0
		.amdhsa_user_sgpr_kernarg_segment_ptr 1
		.amdhsa_user_sgpr_dispatch_id 0
		.amdhsa_user_sgpr_private_segment_size 0
		.amdhsa_wavefront_size32 1
		.amdhsa_uses_dynamic_stack 0
		.amdhsa_enable_private_segment 0
		.amdhsa_system_sgpr_workgroup_id_x 1
		.amdhsa_system_sgpr_workgroup_id_y 0
		.amdhsa_system_sgpr_workgroup_id_z 0
		.amdhsa_system_sgpr_workgroup_info 0
		.amdhsa_system_vgpr_workitem_id 0
		.amdhsa_next_free_vgpr 4
		.amdhsa_next_free_sgpr 16
		.amdhsa_reserve_vcc 1
		.amdhsa_float_round_mode_32 0
		.amdhsa_float_round_mode_16_64 0
		.amdhsa_float_denorm_mode_32 3
		.amdhsa_float_denorm_mode_16_64 3
		.amdhsa_dx10_clamp 1
		.amdhsa_ieee_mode 1
		.amdhsa_fp16_overflow 0
		.amdhsa_workgroup_processor_mode 1
		.amdhsa_memory_ordered 1
		.amdhsa_forward_progress 0
		.amdhsa_shared_vgpr_count 0
		.amdhsa_exception_fp_ieee_invalid_op 0
		.amdhsa_exception_fp_denorm_src 0
		.amdhsa_exception_fp_ieee_div_zero 0
		.amdhsa_exception_fp_ieee_overflow 0
		.amdhsa_exception_fp_ieee_underflow 0
		.amdhsa_exception_fp_ieee_inexact 0
		.amdhsa_exception_int_div_zero 0
	.end_amdhsa_kernel
	.section	.text._ZN9rocsparseL39csr2bsr_nnz_block_dim_equals_one_kernelILj256EilEEvT1_21rocsparse_index_base_PKT0_S2_PS3_,"axG",@progbits,_ZN9rocsparseL39csr2bsr_nnz_block_dim_equals_one_kernelILj256EilEEvT1_21rocsparse_index_base_PKT0_S2_PS3_,comdat
.Lfunc_end23:
	.size	_ZN9rocsparseL39csr2bsr_nnz_block_dim_equals_one_kernelILj256EilEEvT1_21rocsparse_index_base_PKT0_S2_PS3_, .Lfunc_end23-_ZN9rocsparseL39csr2bsr_nnz_block_dim_equals_one_kernelILj256EilEEvT1_21rocsparse_index_base_PKT0_S2_PS3_
                                        ; -- End function
	.section	.AMDGPU.csdata,"",@progbits
; Kernel info:
; codeLenInByte = 152
; NumSgprs: 18
; NumVgprs: 4
; ScratchSize: 0
; MemoryBound: 0
; FloatMode: 240
; IeeeMode: 1
; LDSByteSize: 0 bytes/workgroup (compile time only)
; SGPRBlocks: 2
; VGPRBlocks: 0
; NumSGPRsForWavesPerEU: 18
; NumVGPRsForWavesPerEU: 4
; Occupancy: 16
; WaveLimiterHint : 0
; COMPUTE_PGM_RSRC2:SCRATCH_EN: 0
; COMPUTE_PGM_RSRC2:USER_SGPR: 15
; COMPUTE_PGM_RSRC2:TRAP_HANDLER: 0
; COMPUTE_PGM_RSRC2:TGID_X_EN: 1
; COMPUTE_PGM_RSRC2:TGID_Y_EN: 0
; COMPUTE_PGM_RSRC2:TGID_Z_EN: 0
; COMPUTE_PGM_RSRC2:TIDIG_COMP_CNT: 0
	.section	.text._ZN9rocsparseL46csr2bsr_nnz_wavefront_per_row_multipass_kernelILj256ELj16ELj4EilEEvT3_S1_S1_S1_S1_21rocsparse_index_base_PKT2_PKS1_S2_PS3_,"axG",@progbits,_ZN9rocsparseL46csr2bsr_nnz_wavefront_per_row_multipass_kernelILj256ELj16ELj4EilEEvT3_S1_S1_S1_S1_21rocsparse_index_base_PKT2_PKS1_S2_PS3_,comdat
	.globl	_ZN9rocsparseL46csr2bsr_nnz_wavefront_per_row_multipass_kernelILj256ELj16ELj4EilEEvT3_S1_S1_S1_S1_21rocsparse_index_base_PKT2_PKS1_S2_PS3_ ; -- Begin function _ZN9rocsparseL46csr2bsr_nnz_wavefront_per_row_multipass_kernelILj256ELj16ELj4EilEEvT3_S1_S1_S1_S1_21rocsparse_index_base_PKT2_PKS1_S2_PS3_
	.p2align	8
	.type	_ZN9rocsparseL46csr2bsr_nnz_wavefront_per_row_multipass_kernelILj256ELj16ELj4EilEEvT3_S1_S1_S1_S1_21rocsparse_index_base_PKT2_PKS1_S2_PS3_,@function
_ZN9rocsparseL46csr2bsr_nnz_wavefront_per_row_multipass_kernelILj256ELj16ELj4EilEEvT3_S1_S1_S1_S1_21rocsparse_index_base_PKT2_PKS1_S2_PS3_: ; @_ZN9rocsparseL46csr2bsr_nnz_wavefront_per_row_multipass_kernelILj256ELj16ELj4EilEEvT3_S1_S1_S1_S1_21rocsparse_index_base_PKT2_PKS1_S2_PS3_
; %bb.0:
	s_load_b64 s[10:11], s[0:1], 0x20
	v_lshrrev_b32_e32 v10, 4, v0
	s_mov_b32 s8, s15
	s_ashr_i32 s9, s15, 31
	s_clause 0x1
	s_load_b64 s[14:15], s[0:1], 0x0
	s_load_b128 s[4:7], s[0:1], 0x10
	s_lshl_b64 s[2:3], s[8:9], 4
	v_dual_mov_b32 v2, 0 :: v_dual_lshlrev_b32 v11, 3, v10
	v_or_b32_e32 v5, s2, v10
	v_bfe_u32 v1, v0, 2, 2
	s_clause 0x1
	s_load_b32 s9, s[0:1], 0x28
	s_load_b64 s[12:13], s[0:1], 0x30
	s_waitcnt lgkmcnt(0)
	v_mul_lo_u32 v6, v5, s11
	v_mad_u64_u32 v[3:4], null, v5, s10, v[1:2]
	s_mul_i32 s2, s3, s10
	v_mov_b32_e32 v5, v2
	s_delay_alu instid0(VALU_DEP_2) | instskip(SKIP_2) | instid1(VALU_DEP_3)
	v_add3_u32 v4, s2, v4, v6
	v_cmp_gt_i64_e64 s2, s[10:11], v[1:2]
	v_dual_mov_b32 v6, v2 :: v_dual_mov_b32 v1, 0
	v_cmp_gt_i64_e32 vcc_lo, s[14:15], v[3:4]
	ds_store_b64 v11, v[5:6]
	s_waitcnt lgkmcnt(0)
	s_barrier
	buffer_gl0_inv
	s_and_b32 s2, s2, vcc_lo
	s_delay_alu instid0(SALU_CYCLE_1)
	s_and_saveexec_b32 s3, s2
	s_cbranch_execz .LBB24_2
; %bb.1:
	v_lshlrev_b64 v[5:6], 2, v[3:4]
	s_delay_alu instid0(VALU_DEP_1) | instskip(NEXT) | instid1(VALU_DEP_2)
	v_add_co_u32 v5, vcc_lo, s12, v5
	v_add_co_ci_u32_e32 v6, vcc_lo, s13, v6, vcc_lo
	global_load_b32 v1, v[5:6], off
	s_waitcnt vmcnt(0)
	v_subrev_nc_u32_e32 v1, s9, v1
.LBB24_2:
	s_or_b32 exec_lo, exec_lo, s3
	s_and_saveexec_b32 s3, s2
	s_cbranch_execz .LBB24_4
; %bb.3:
	v_lshlrev_b64 v[2:3], 2, v[3:4]
	s_delay_alu instid0(VALU_DEP_1) | instskip(NEXT) | instid1(VALU_DEP_2)
	v_add_co_u32 v2, vcc_lo, s12, v2
	v_add_co_ci_u32_e32 v3, vcc_lo, s13, v3, vcc_lo
	global_load_b32 v2, v[2:3], off offset:4
	s_waitcnt vmcnt(0)
	v_subrev_nc_u32_e32 v2, s9, v2
.LBB24_4:
	s_or_b32 exec_lo, exec_lo, s3
	v_cmp_lt_i64_e64 s2, s[6:7], 1
	v_and_b32_e32 v12, 15, v0
	s_delay_alu instid0(VALU_DEP_2) | instskip(NEXT) | instid1(VALU_DEP_1)
	s_and_b32 vcc_lo, exec_lo, s2
	v_cmp_eq_u32_e64 s2, 0, v12
	s_cbranch_vccnz .LBB24_22
; %bb.5:
	v_cvt_f32_u32_e32 v3, s10
	v_mbcnt_lo_u32_b32 v5, -1, 0
	s_sub_i32 s3, 0, s10
	s_load_b64 s[12:13], s[0:1], 0x38
	s_mov_b32 s18, 0
	v_rcp_iflag_f32_e32 v3, v3
	v_xor_b32_e32 v7, 2, v5
	v_and_b32_e32 v13, 3, v0
	v_xor_b32_e32 v8, 1, v5
	v_xor_b32_e32 v15, 8, v5
	v_xor_b32_e32 v16, 4, v5
	v_cmp_gt_i32_e32 vcc_lo, 32, v7
	s_ashr_i32 s14, s11, 31
	v_dual_mov_b32 v0, 0 :: v_dual_lshlrev_b32 v9, 2, v5
	s_delay_alu instid0(TRANS32_DEP_1)
	v_mul_f32_e32 v6, 0x4f7ffffe, v3
	v_cndmask_b32_e32 v7, v5, v7, vcc_lo
	v_cmp_gt_i32_e32 vcc_lo, 32, v8
	v_mov_b32_e32 v3, 0
	v_mov_b32_e32 v4, 0
	v_cvt_u32_f32_e32 v6, v6
	v_or_b32_e32 v14, 12, v9
	v_cndmask_b32_e32 v8, v5, v8, vcc_lo
	v_cmp_gt_i32_e32 vcc_lo, 32, v15
	v_mov_b32_e32 v21, 1
	v_mul_lo_u32 v17, s3, v6
	v_cndmask_b32_e32 v18, v5, v15, vcc_lo
	v_cmp_gt_i32_e32 vcc_lo, 32, v16
	v_or_b32_e32 v15, 60, v9
	s_delay_alu instid0(VALU_DEP_4) | instskip(SKIP_1) | instid1(VALU_DEP_1)
	v_mul_hi_u32 v20, v6, v17
	v_cndmask_b32_e32 v5, v5, v16, vcc_lo
	v_lshlrev_b32_e32 v19, 2, v5
	v_lshlrev_b32_e32 v17, 2, v8
	;; [unrolled: 1-line block ×4, first 2 shown]
	v_add_nc_u32_e32 v20, v6, v20
	s_branch .LBB24_7
.LBB24_6:                               ;   in Loop: Header=BB24_7 Depth=1
	s_or_b32 exec_lo, exec_lo, s3
	ds_bpermute_b32 v3, v18, v5
	ds_bpermute_b32 v4, v18, v6
	s_waitcnt lgkmcnt(0)
	buffer_gl0_inv
	v_cmp_lt_i64_e32 vcc_lo, v[3:4], v[5:6]
	v_dual_cndmask_b32 v4, v6, v4 :: v_dual_cndmask_b32 v3, v5, v3
	ds_bpermute_b32 v6, v19, v4
	ds_bpermute_b32 v5, v19, v3
	s_waitcnt lgkmcnt(0)
	v_cmp_lt_i64_e32 vcc_lo, v[5:6], v[3:4]
	v_dual_cndmask_b32 v4, v4, v6 :: v_dual_cndmask_b32 v3, v3, v5
	ds_bpermute_b32 v6, v16, v4
	ds_bpermute_b32 v5, v16, v3
	s_waitcnt lgkmcnt(0)
	;; [unrolled: 5-line block ×3, first 2 shown]
	v_cmp_lt_i64_e32 vcc_lo, v[5:6], v[3:4]
	v_cndmask_b32_e32 v3, v3, v5, vcc_lo
	ds_bpermute_b32 v3, v15, v3
	s_waitcnt lgkmcnt(0)
	v_ashrrev_i32_e32 v4, 31, v3
	s_delay_alu instid0(VALU_DEP_1) | instskip(SKIP_1) | instid1(SALU_CYCLE_1)
	v_cmp_le_i64_e32 vcc_lo, s[6:7], v[3:4]
	s_or_b32 s18, vcc_lo, s18
	s_and_not1_b32 exec_lo, exec_lo, s18
	s_cbranch_execz .LBB24_21
.LBB24_7:                               ; =>This Loop Header: Depth=1
                                        ;     Child Loop BB24_10 Depth 2
	v_mov_b32_e32 v5, s6
	v_dual_mov_b32 v6, s7 :: v_dual_add_nc_u32 v7, v1, v13
	v_mov_b32_e32 v1, v2
	s_mov_b32 s19, exec_lo
	ds_store_b8 v10, v0 offset:128
	s_waitcnt lgkmcnt(0)
	buffer_gl0_inv
	v_cmpx_lt_i32_e64 v7, v2
	s_cbranch_execz .LBB24_19
; %bb.8:                                ;   in Loop: Header=BB24_7 Depth=1
	v_dual_mov_b32 v5, s6 :: v_dual_mov_b32 v6, s7
	v_mov_b32_e32 v22, v2
	s_mov_b32 s20, 0
	s_branch .LBB24_10
.LBB24_9:                               ;   in Loop: Header=BB24_10 Depth=2
	s_or_b32 exec_lo, exec_lo, s3
	s_delay_alu instid0(VALU_DEP_1) | instskip(SKIP_1) | instid1(VALU_DEP_1)
	v_dual_mov_b32 v22, v1 :: v_dual_add_nc_u32 v7, 4, v7
	s_xor_b32 s15, vcc_lo, -1
	v_cmp_ge_i32_e64 s3, v7, v2
	s_delay_alu instid0(VALU_DEP_1) | instskip(NEXT) | instid1(SALU_CYCLE_1)
	s_or_b32 s3, s15, s3
	s_and_b32 s3, exec_lo, s3
	s_delay_alu instid0(SALU_CYCLE_1) | instskip(NEXT) | instid1(SALU_CYCLE_1)
	s_or_b32 s20, s3, s20
	s_and_not1_b32 exec_lo, exec_lo, s20
	s_cbranch_execz .LBB24_18
.LBB24_10:                              ;   Parent Loop BB24_7 Depth=1
                                        ; =>  This Inner Loop Header: Depth=2
	v_ashrrev_i32_e32 v8, 31, v7
	s_mov_b32 s3, exec_lo
	s_delay_alu instid0(VALU_DEP_1) | instskip(NEXT) | instid1(VALU_DEP_1)
	v_lshlrev_b64 v[8:9], 3, v[7:8]
	v_add_co_u32 v8, vcc_lo, s12, v8
	s_delay_alu instid0(VALU_DEP_2) | instskip(SKIP_4) | instid1(VALU_DEP_1)
	v_add_co_ci_u32_e32 v9, vcc_lo, s13, v9, vcc_lo
	global_load_b64 v[8:9], v[8:9], off
	s_waitcnt vmcnt(0)
	v_sub_co_u32 v23, vcc_lo, v8, s9
	v_subrev_co_ci_u32_e32 v24, vcc_lo, 0, v9, vcc_lo
                                        ; implicit-def: $vgpr8_vgpr9
	v_or_b32_e32 v1, s11, v24
	s_delay_alu instid0(VALU_DEP_1)
	v_cmpx_ne_u64_e32 0, v[0:1]
	s_xor_b32 s21, exec_lo, s3
	s_cbranch_execz .LBB24_12
; %bb.11:                               ;   in Loop: Header=BB24_10 Depth=2
	s_add_u32 s16, s10, s14
	s_mov_b32 s15, s14
	s_addc_u32 s17, s11, s14
	s_delay_alu instid0(SALU_CYCLE_1) | instskip(NEXT) | instid1(SALU_CYCLE_1)
	s_xor_b64 s[16:17], s[16:17], s[14:15]
	v_cvt_f32_u32_e32 v1, s16
	v_cvt_f32_u32_e32 v8, s17
	s_sub_u32 s3, 0, s16
	s_subb_u32 s15, 0, s17
	s_delay_alu instid0(VALU_DEP_1) | instskip(NEXT) | instid1(VALU_DEP_1)
	v_fmac_f32_e32 v1, 0x4f800000, v8
	v_rcp_f32_e32 v1, v1
	s_waitcnt_depctr 0xfff
	v_mul_f32_e32 v1, 0x5f7ffffc, v1
	s_delay_alu instid0(VALU_DEP_1) | instskip(NEXT) | instid1(VALU_DEP_1)
	v_mul_f32_e32 v8, 0x2f800000, v1
	v_trunc_f32_e32 v8, v8
	s_delay_alu instid0(VALU_DEP_1) | instskip(SKIP_1) | instid1(VALU_DEP_2)
	v_fmac_f32_e32 v1, 0xcf800000, v8
	v_cvt_u32_f32_e32 v8, v8
	v_cvt_u32_f32_e32 v1, v1
	s_delay_alu instid0(VALU_DEP_2) | instskip(NEXT) | instid1(VALU_DEP_2)
	v_mul_lo_u32 v9, s3, v8
	v_mul_hi_u32 v25, s3, v1
	v_mul_lo_u32 v26, s15, v1
	s_delay_alu instid0(VALU_DEP_2) | instskip(SKIP_1) | instid1(VALU_DEP_2)
	v_add_nc_u32_e32 v9, v25, v9
	v_mul_lo_u32 v25, s3, v1
	v_add_nc_u32_e32 v9, v9, v26
	s_delay_alu instid0(VALU_DEP_2) | instskip(NEXT) | instid1(VALU_DEP_2)
	v_mul_hi_u32 v26, v1, v25
	v_mul_lo_u32 v27, v1, v9
	v_mul_hi_u32 v28, v1, v9
	v_mul_hi_u32 v29, v8, v25
	v_mul_lo_u32 v25, v8, v25
	v_mul_hi_u32 v30, v8, v9
	v_mul_lo_u32 v9, v8, v9
	v_add_co_u32 v26, vcc_lo, v26, v27
	v_add_co_ci_u32_e32 v27, vcc_lo, 0, v28, vcc_lo
	s_delay_alu instid0(VALU_DEP_2) | instskip(NEXT) | instid1(VALU_DEP_2)
	v_add_co_u32 v25, vcc_lo, v26, v25
	v_add_co_ci_u32_e32 v25, vcc_lo, v27, v29, vcc_lo
	v_add_co_ci_u32_e32 v26, vcc_lo, 0, v30, vcc_lo
	v_ashrrev_i32_e32 v29, 31, v24
	s_delay_alu instid0(VALU_DEP_3) | instskip(NEXT) | instid1(VALU_DEP_3)
	v_add_co_u32 v9, vcc_lo, v25, v9
	v_add_co_ci_u32_e32 v25, vcc_lo, 0, v26, vcc_lo
	s_delay_alu instid0(VALU_DEP_2) | instskip(NEXT) | instid1(VALU_DEP_2)
	v_add_co_u32 v1, vcc_lo, v1, v9
	v_add_co_ci_u32_e32 v8, vcc_lo, v8, v25, vcc_lo
	s_delay_alu instid0(VALU_DEP_2) | instskip(SKIP_1) | instid1(VALU_DEP_3)
	v_mul_hi_u32 v9, s3, v1
	v_mul_lo_u32 v26, s15, v1
	v_mul_lo_u32 v25, s3, v8
	s_delay_alu instid0(VALU_DEP_1) | instskip(SKIP_1) | instid1(VALU_DEP_2)
	v_add_nc_u32_e32 v9, v9, v25
	v_mul_lo_u32 v25, s3, v1
	v_add_nc_u32_e32 v9, v9, v26
	s_delay_alu instid0(VALU_DEP_2) | instskip(NEXT) | instid1(VALU_DEP_2)
	v_mul_hi_u32 v26, v1, v25
	v_mul_lo_u32 v27, v1, v9
	v_mul_hi_u32 v28, v1, v9
	v_mul_hi_u32 v30, v8, v25
	v_mul_lo_u32 v25, v8, v25
	v_mul_hi_u32 v31, v8, v9
	v_mul_lo_u32 v9, v8, v9
	v_add_co_u32 v26, vcc_lo, v26, v27
	v_add_co_ci_u32_e32 v27, vcc_lo, 0, v28, vcc_lo
	s_delay_alu instid0(VALU_DEP_2) | instskip(NEXT) | instid1(VALU_DEP_2)
	v_add_co_u32 v25, vcc_lo, v26, v25
	v_add_co_ci_u32_e32 v25, vcc_lo, v27, v30, vcc_lo
	v_add_co_ci_u32_e32 v26, vcc_lo, 0, v31, vcc_lo
	v_add_co_u32 v23, vcc_lo, v23, v29
	v_add_co_ci_u32_e32 v24, vcc_lo, v24, v29, vcc_lo
	s_delay_alu instid0(VALU_DEP_4) | instskip(NEXT) | instid1(VALU_DEP_4)
	v_add_co_u32 v9, vcc_lo, v25, v9
	v_add_co_ci_u32_e32 v25, vcc_lo, 0, v26, vcc_lo
	s_delay_alu instid0(VALU_DEP_4) | instskip(NEXT) | instid1(VALU_DEP_3)
	v_xor_b32_e32 v27, v23, v29
	v_add_co_u32 v1, vcc_lo, v1, v9
	s_delay_alu instid0(VALU_DEP_3) | instskip(SKIP_1) | instid1(VALU_DEP_3)
	v_add_co_ci_u32_e32 v28, vcc_lo, v8, v25, vcc_lo
	v_xor_b32_e32 v30, v24, v29
	v_mul_hi_u32 v31, v27, v1
	s_delay_alu instid0(VALU_DEP_3) | instskip(NEXT) | instid1(VALU_DEP_3)
	v_mad_u64_u32 v[8:9], null, v27, v28, 0
	v_mad_u64_u32 v[23:24], null, v30, v1, 0
	;; [unrolled: 1-line block ×3, first 2 shown]
	s_delay_alu instid0(VALU_DEP_3) | instskip(NEXT) | instid1(VALU_DEP_4)
	v_add_co_u32 v1, vcc_lo, v31, v8
	v_add_co_ci_u32_e32 v8, vcc_lo, 0, v9, vcc_lo
	s_delay_alu instid0(VALU_DEP_2) | instskip(NEXT) | instid1(VALU_DEP_2)
	v_add_co_u32 v1, vcc_lo, v1, v23
	v_add_co_ci_u32_e32 v1, vcc_lo, v8, v24, vcc_lo
	v_add_co_ci_u32_e32 v8, vcc_lo, 0, v26, vcc_lo
	s_delay_alu instid0(VALU_DEP_2) | instskip(NEXT) | instid1(VALU_DEP_2)
	v_add_co_u32 v1, vcc_lo, v1, v25
	v_add_co_ci_u32_e32 v23, vcc_lo, 0, v8, vcc_lo
	s_delay_alu instid0(VALU_DEP_2) | instskip(SKIP_1) | instid1(VALU_DEP_3)
	v_mul_lo_u32 v24, s17, v1
	v_mad_u64_u32 v[8:9], null, s16, v1, 0
	v_mul_lo_u32 v25, s16, v23
	s_delay_alu instid0(VALU_DEP_2) | instskip(NEXT) | instid1(VALU_DEP_2)
	v_sub_co_u32 v8, vcc_lo, v27, v8
	v_add3_u32 v9, v9, v25, v24
	s_delay_alu instid0(VALU_DEP_1) | instskip(NEXT) | instid1(VALU_DEP_1)
	v_sub_nc_u32_e32 v24, v30, v9
	v_subrev_co_ci_u32_e64 v24, s3, s17, v24, vcc_lo
	v_add_co_u32 v25, s3, v1, 2
	s_delay_alu instid0(VALU_DEP_1) | instskip(SKIP_3) | instid1(VALU_DEP_3)
	v_add_co_ci_u32_e64 v26, s3, 0, v23, s3
	v_sub_co_u32 v27, s3, v8, s16
	v_sub_co_ci_u32_e32 v9, vcc_lo, v30, v9, vcc_lo
	v_subrev_co_ci_u32_e64 v24, s3, 0, v24, s3
	v_cmp_le_u32_e32 vcc_lo, s16, v27
	s_delay_alu instid0(VALU_DEP_3) | instskip(SKIP_1) | instid1(VALU_DEP_4)
	v_cmp_eq_u32_e64 s3, s17, v9
	v_cndmask_b32_e64 v27, 0, -1, vcc_lo
	v_cmp_le_u32_e32 vcc_lo, s17, v24
	v_cndmask_b32_e64 v28, 0, -1, vcc_lo
	v_cmp_le_u32_e32 vcc_lo, s16, v8
	;; [unrolled: 2-line block ×3, first 2 shown]
	v_cndmask_b32_e64 v30, 0, -1, vcc_lo
	v_cmp_eq_u32_e32 vcc_lo, s17, v24
	s_delay_alu instid0(VALU_DEP_2) | instskip(SKIP_3) | instid1(VALU_DEP_3)
	v_cndmask_b32_e64 v8, v30, v8, s3
	v_cndmask_b32_e32 v24, v28, v27, vcc_lo
	v_add_co_u32 v27, vcc_lo, v1, 1
	v_add_co_ci_u32_e32 v28, vcc_lo, 0, v23, vcc_lo
	v_cmp_ne_u32_e32 vcc_lo, 0, v24
	s_delay_alu instid0(VALU_DEP_2) | instskip(SKIP_2) | instid1(VALU_DEP_3)
	v_dual_cndmask_b32 v24, v27, v25 :: v_dual_cndmask_b32 v9, v28, v26
	v_cmp_ne_u32_e32 vcc_lo, 0, v8
	v_xor_b32_e32 v25, s14, v29
	v_dual_cndmask_b32 v8, v23, v9 :: v_dual_cndmask_b32 v1, v1, v24
                                        ; implicit-def: $vgpr23
	s_delay_alu instid0(VALU_DEP_1) | instskip(NEXT) | instid1(VALU_DEP_2)
	v_xor_b32_e32 v9, v8, v25
	v_xor_b32_e32 v1, v1, v25
	s_delay_alu instid0(VALU_DEP_1) | instskip(NEXT) | instid1(VALU_DEP_3)
	v_sub_co_u32 v8, vcc_lo, v1, v25
	v_sub_co_ci_u32_e32 v9, vcc_lo, v9, v25, vcc_lo
.LBB24_12:                              ;   in Loop: Header=BB24_10 Depth=2
	s_and_not1_saveexec_b32 s3, s21
; %bb.13:                               ;   in Loop: Header=BB24_10 Depth=2
	v_mul_hi_u32 v1, v23, v20
	s_delay_alu instid0(VALU_DEP_1) | instskip(NEXT) | instid1(VALU_DEP_1)
	v_mul_lo_u32 v8, v1, s10
	v_sub_nc_u32_e32 v8, v23, v8
	s_delay_alu instid0(VALU_DEP_1) | instskip(SKIP_1) | instid1(VALU_DEP_2)
	v_subrev_nc_u32_e32 v23, s10, v8
	v_cmp_le_u32_e32 vcc_lo, s10, v8
	v_dual_cndmask_b32 v8, v8, v23 :: v_dual_add_nc_u32 v9, 1, v1
	s_delay_alu instid0(VALU_DEP_1) | instskip(NEXT) | instid1(VALU_DEP_2)
	v_cndmask_b32_e32 v1, v1, v9, vcc_lo
	v_cmp_le_u32_e32 vcc_lo, s10, v8
	s_delay_alu instid0(VALU_DEP_2) | instskip(NEXT) | instid1(VALU_DEP_1)
	v_add_nc_u32_e32 v9, 1, v1
	v_dual_cndmask_b32 v8, v1, v9 :: v_dual_mov_b32 v9, v0
; %bb.14:                               ;   in Loop: Header=BB24_10 Depth=2
	s_or_b32 exec_lo, exec_lo, s3
	s_delay_alu instid0(VALU_DEP_1)
	v_cmp_eq_u64_e32 vcc_lo, v[8:9], v[3:4]
	s_mov_b32 s15, exec_lo
	v_cmpx_ne_u64_e64 v[8:9], v[3:4]
	s_xor_b32 s15, exec_lo, s15
; %bb.15:                               ;   in Loop: Header=BB24_10 Depth=2
	v_cmp_lt_i64_e64 s3, v[8:9], v[5:6]
                                        ; implicit-def: $vgpr22
	s_delay_alu instid0(VALU_DEP_1)
	v_cndmask_b32_e64 v6, v6, v9, s3
	v_cndmask_b32_e64 v5, v5, v8, s3
; %bb.16:                               ;   in Loop: Header=BB24_10 Depth=2
	s_or_saveexec_b32 s3, s15
	v_mov_b32_e32 v1, v7
	s_xor_b32 exec_lo, exec_lo, s3
	s_cbranch_execz .LBB24_9
; %bb.17:                               ;   in Loop: Header=BB24_10 Depth=2
	v_mov_b32_e32 v1, v22
	ds_store_b8 v10, v21 offset:128
	s_branch .LBB24_9
.LBB24_18:                              ;   in Loop: Header=BB24_7 Depth=1
	s_or_b32 exec_lo, exec_lo, s20
.LBB24_19:                              ;   in Loop: Header=BB24_7 Depth=1
	s_delay_alu instid0(SALU_CYCLE_1)
	s_or_b32 exec_lo, exec_lo, s19
	ds_bpermute_b32 v3, v16, v1
	s_waitcnt lgkmcnt(0)
	buffer_gl0_inv
	ds_load_u8 v4, v10 offset:128
	v_min_i32_e32 v1, v3, v1
	ds_bpermute_b32 v3, v17, v1
	s_waitcnt lgkmcnt(0)
	v_min_i32_e32 v1, v3, v1
	v_and_b32_e32 v3, 1, v4
	ds_bpermute_b32 v1, v14, v1
	v_cmp_eq_u32_e32 vcc_lo, 1, v3
	s_and_b32 s15, s2, vcc_lo
	s_delay_alu instid0(SALU_CYCLE_1)
	s_and_saveexec_b32 s3, s15
	s_cbranch_execz .LBB24_6
; %bb.20:                               ;   in Loop: Header=BB24_7 Depth=1
	ds_load_b64 v[3:4], v11
	s_waitcnt lgkmcnt(0)
	v_add_co_u32 v3, vcc_lo, v3, 1
	v_add_co_ci_u32_e32 v4, vcc_lo, 0, v4, vcc_lo
	ds_store_b64 v11, v[3:4]
	s_branch .LBB24_6
.LBB24_21:
	s_or_b32 exec_lo, exec_lo, s18
.LBB24_22:
	s_delay_alu instid0(SALU_CYCLE_1)
	s_mov_b32 s2, exec_lo
	v_cmpx_eq_u32_e32 0, v12
	s_cbranch_execz .LBB24_25
; %bb.23:
	s_clause 0x1
	s_load_b32 s2, s[0:1], 0x40
	s_load_b64 s[0:1], s[0:1], 0x48
	v_mov_b32_e32 v1, 0
	v_lshl_or_b32 v0, s8, 4, v10
	s_waitcnt lgkmcnt(0)
	v_mov_b32_e32 v2, s2
	s_delay_alu instid0(VALU_DEP_2)
	v_cmp_gt_i64_e32 vcc_lo, s[4:5], v[0:1]
	global_store_b32 v1, v2, s[0:1]
	s_and_b32 exec_lo, exec_lo, vcc_lo
	s_cbranch_execz .LBB24_25
; %bb.24:
	ds_load_b32 v2, v11
	v_add_nc_u32_e32 v0, 1, v0
	s_delay_alu instid0(VALU_DEP_1) | instskip(NEXT) | instid1(VALU_DEP_1)
	v_lshlrev_b64 v[0:1], 2, v[0:1]
	v_add_co_u32 v0, vcc_lo, s0, v0
	s_delay_alu instid0(VALU_DEP_2)
	v_add_co_ci_u32_e32 v1, vcc_lo, s1, v1, vcc_lo
	s_waitcnt lgkmcnt(0)
	global_store_b32 v[0:1], v2, off
.LBB24_25:
	s_nop 0
	s_sendmsg sendmsg(MSG_DEALLOC_VGPRS)
	s_endpgm
	.section	.rodata,"a",@progbits
	.p2align	6, 0x0
	.amdhsa_kernel _ZN9rocsparseL46csr2bsr_nnz_wavefront_per_row_multipass_kernelILj256ELj16ELj4EilEEvT3_S1_S1_S1_S1_21rocsparse_index_base_PKT2_PKS1_S2_PS3_
		.amdhsa_group_segment_fixed_size 144
		.amdhsa_private_segment_fixed_size 0
		.amdhsa_kernarg_size 80
		.amdhsa_user_sgpr_count 15
		.amdhsa_user_sgpr_dispatch_ptr 0
		.amdhsa_user_sgpr_queue_ptr 0
		.amdhsa_user_sgpr_kernarg_segment_ptr 1
		.amdhsa_user_sgpr_dispatch_id 0
		.amdhsa_user_sgpr_private_segment_size 0
		.amdhsa_wavefront_size32 1
		.amdhsa_uses_dynamic_stack 0
		.amdhsa_enable_private_segment 0
		.amdhsa_system_sgpr_workgroup_id_x 1
		.amdhsa_system_sgpr_workgroup_id_y 0
		.amdhsa_system_sgpr_workgroup_id_z 0
		.amdhsa_system_sgpr_workgroup_info 0
		.amdhsa_system_vgpr_workitem_id 0
		.amdhsa_next_free_vgpr 32
		.amdhsa_next_free_sgpr 22
		.amdhsa_reserve_vcc 1
		.amdhsa_float_round_mode_32 0
		.amdhsa_float_round_mode_16_64 0
		.amdhsa_float_denorm_mode_32 3
		.amdhsa_float_denorm_mode_16_64 3
		.amdhsa_dx10_clamp 1
		.amdhsa_ieee_mode 1
		.amdhsa_fp16_overflow 0
		.amdhsa_workgroup_processor_mode 1
		.amdhsa_memory_ordered 1
		.amdhsa_forward_progress 0
		.amdhsa_shared_vgpr_count 0
		.amdhsa_exception_fp_ieee_invalid_op 0
		.amdhsa_exception_fp_denorm_src 0
		.amdhsa_exception_fp_ieee_div_zero 0
		.amdhsa_exception_fp_ieee_overflow 0
		.amdhsa_exception_fp_ieee_underflow 0
		.amdhsa_exception_fp_ieee_inexact 0
		.amdhsa_exception_int_div_zero 0
	.end_amdhsa_kernel
	.section	.text._ZN9rocsparseL46csr2bsr_nnz_wavefront_per_row_multipass_kernelILj256ELj16ELj4EilEEvT3_S1_S1_S1_S1_21rocsparse_index_base_PKT2_PKS1_S2_PS3_,"axG",@progbits,_ZN9rocsparseL46csr2bsr_nnz_wavefront_per_row_multipass_kernelILj256ELj16ELj4EilEEvT3_S1_S1_S1_S1_21rocsparse_index_base_PKT2_PKS1_S2_PS3_,comdat
.Lfunc_end24:
	.size	_ZN9rocsparseL46csr2bsr_nnz_wavefront_per_row_multipass_kernelILj256ELj16ELj4EilEEvT3_S1_S1_S1_S1_21rocsparse_index_base_PKT2_PKS1_S2_PS3_, .Lfunc_end24-_ZN9rocsparseL46csr2bsr_nnz_wavefront_per_row_multipass_kernelILj256ELj16ELj4EilEEvT3_S1_S1_S1_S1_21rocsparse_index_base_PKT2_PKS1_S2_PS3_
                                        ; -- End function
	.section	.AMDGPU.csdata,"",@progbits
; Kernel info:
; codeLenInByte = 2124
; NumSgprs: 24
; NumVgprs: 32
; ScratchSize: 0
; MemoryBound: 0
; FloatMode: 240
; IeeeMode: 1
; LDSByteSize: 144 bytes/workgroup (compile time only)
; SGPRBlocks: 2
; VGPRBlocks: 3
; NumSGPRsForWavesPerEU: 24
; NumVGPRsForWavesPerEU: 32
; Occupancy: 16
; WaveLimiterHint : 0
; COMPUTE_PGM_RSRC2:SCRATCH_EN: 0
; COMPUTE_PGM_RSRC2:USER_SGPR: 15
; COMPUTE_PGM_RSRC2:TRAP_HANDLER: 0
; COMPUTE_PGM_RSRC2:TGID_X_EN: 1
; COMPUTE_PGM_RSRC2:TGID_Y_EN: 0
; COMPUTE_PGM_RSRC2:TGID_Z_EN: 0
; COMPUTE_PGM_RSRC2:TIDIG_COMP_CNT: 0
	.section	.text._ZN9rocsparseL46csr2bsr_nnz_wavefront_per_row_multipass_kernelILj256ELj64ELj8EilEEvT3_S1_S1_S1_S1_21rocsparse_index_base_PKT2_PKS1_S2_PS3_,"axG",@progbits,_ZN9rocsparseL46csr2bsr_nnz_wavefront_per_row_multipass_kernelILj256ELj64ELj8EilEEvT3_S1_S1_S1_S1_21rocsparse_index_base_PKT2_PKS1_S2_PS3_,comdat
	.globl	_ZN9rocsparseL46csr2bsr_nnz_wavefront_per_row_multipass_kernelILj256ELj64ELj8EilEEvT3_S1_S1_S1_S1_21rocsparse_index_base_PKT2_PKS1_S2_PS3_ ; -- Begin function _ZN9rocsparseL46csr2bsr_nnz_wavefront_per_row_multipass_kernelILj256ELj64ELj8EilEEvT3_S1_S1_S1_S1_21rocsparse_index_base_PKT2_PKS1_S2_PS3_
	.p2align	8
	.type	_ZN9rocsparseL46csr2bsr_nnz_wavefront_per_row_multipass_kernelILj256ELj64ELj8EilEEvT3_S1_S1_S1_S1_21rocsparse_index_base_PKT2_PKS1_S2_PS3_,@function
_ZN9rocsparseL46csr2bsr_nnz_wavefront_per_row_multipass_kernelILj256ELj64ELj8EilEEvT3_S1_S1_S1_S1_21rocsparse_index_base_PKT2_PKS1_S2_PS3_: ; @_ZN9rocsparseL46csr2bsr_nnz_wavefront_per_row_multipass_kernelILj256ELj64ELj8EilEEvT3_S1_S1_S1_S1_21rocsparse_index_base_PKT2_PKS1_S2_PS3_
; %bb.0:
	s_load_b64 s[10:11], s[0:1], 0x20
	v_lshrrev_b32_e32 v10, 6, v0
	s_mov_b32 s8, s15
	s_ashr_i32 s9, s15, 31
	s_clause 0x1
	s_load_b64 s[14:15], s[0:1], 0x0
	s_load_b128 s[4:7], s[0:1], 0x10
	s_lshl_b64 s[2:3], s[8:9], 2
	v_dual_mov_b32 v2, 0 :: v_dual_lshlrev_b32 v11, 3, v10
	v_or_b32_e32 v5, s2, v10
	v_bfe_u32 v1, v0, 3, 3
	s_clause 0x1
	s_load_b32 s9, s[0:1], 0x28
	s_load_b64 s[12:13], s[0:1], 0x30
	s_waitcnt lgkmcnt(0)
	v_mul_lo_u32 v6, v5, s11
	v_mad_u64_u32 v[3:4], null, v5, s10, v[1:2]
	s_mul_i32 s2, s3, s10
	v_mov_b32_e32 v5, v2
	s_delay_alu instid0(VALU_DEP_2) | instskip(SKIP_2) | instid1(VALU_DEP_3)
	v_add3_u32 v4, s2, v4, v6
	v_cmp_gt_i64_e64 s2, s[10:11], v[1:2]
	v_dual_mov_b32 v6, v2 :: v_dual_mov_b32 v1, 0
	v_cmp_gt_i64_e32 vcc_lo, s[14:15], v[3:4]
	ds_store_b64 v11, v[5:6]
	s_waitcnt lgkmcnt(0)
	s_barrier
	buffer_gl0_inv
	s_and_b32 s2, s2, vcc_lo
	s_delay_alu instid0(SALU_CYCLE_1)
	s_and_saveexec_b32 s3, s2
	s_cbranch_execz .LBB25_2
; %bb.1:
	v_lshlrev_b64 v[5:6], 2, v[3:4]
	s_delay_alu instid0(VALU_DEP_1) | instskip(NEXT) | instid1(VALU_DEP_2)
	v_add_co_u32 v5, vcc_lo, s12, v5
	v_add_co_ci_u32_e32 v6, vcc_lo, s13, v6, vcc_lo
	global_load_b32 v1, v[5:6], off
	s_waitcnt vmcnt(0)
	v_subrev_nc_u32_e32 v1, s9, v1
.LBB25_2:
	s_or_b32 exec_lo, exec_lo, s3
	s_and_saveexec_b32 s3, s2
	s_cbranch_execz .LBB25_4
; %bb.3:
	v_lshlrev_b64 v[2:3], 2, v[3:4]
	s_delay_alu instid0(VALU_DEP_1) | instskip(NEXT) | instid1(VALU_DEP_2)
	v_add_co_u32 v2, vcc_lo, s12, v2
	v_add_co_ci_u32_e32 v3, vcc_lo, s13, v3, vcc_lo
	global_load_b32 v2, v[2:3], off offset:4
	s_waitcnt vmcnt(0)
	v_subrev_nc_u32_e32 v2, s9, v2
.LBB25_4:
	s_or_b32 exec_lo, exec_lo, s3
	v_cmp_lt_i64_e64 s2, s[6:7], 1
	v_and_b32_e32 v12, 63, v0
	s_delay_alu instid0(VALU_DEP_2) | instskip(NEXT) | instid1(VALU_DEP_1)
	s_and_b32 vcc_lo, exec_lo, s2
	v_cmp_eq_u32_e64 s2, 0, v12
	s_cbranch_vccnz .LBB25_22
; %bb.5:
	v_mbcnt_lo_u32_b32 v6, -1, 0
	v_cvt_f32_u32_e32 v3, s10
	s_sub_i32 s3, 0, s10
	s_load_b64 s[12:13], s[0:1], 0x38
	v_and_b32_e32 v13, 7, v0
	v_xor_b32_e32 v7, 4, v6
	v_rcp_iflag_f32_e32 v5, v3
	v_xor_b32_e32 v8, 2, v6
	v_xor_b32_e32 v9, 1, v6
	v_or_b32_e32 v16, 32, v6
	v_cmp_gt_i32_e32 vcc_lo, 32, v7
	v_xor_b32_e32 v17, 16, v6
	v_xor_b32_e32 v18, 8, v6
	v_lshl_or_b32 v15, v6, 2, 28
	v_dual_mov_b32 v3, 0 :: v_dual_mov_b32 v0, 0
	v_cndmask_b32_e32 v7, v6, v7, vcc_lo
	v_cmp_gt_i32_e32 vcc_lo, 32, v8
	v_mul_f32_e32 v5, 0x4f7ffffe, v5
	v_bfrev_b32_e32 v14, 0.5
	v_mov_b32_e32 v4, 0
	s_mov_b32 s18, 0
	v_cndmask_b32_e32 v8, v6, v8, vcc_lo
	v_cmp_gt_i32_e32 vcc_lo, 32, v9
	v_cvt_u32_f32_e32 v5, v5
	s_ashr_i32 s14, s11, 31
	v_mov_b32_e32 v23, 1
	v_cndmask_b32_e32 v9, v6, v9, vcc_lo
	v_cmp_gt_i32_e32 vcc_lo, 32, v16
	v_mul_lo_u32 v19, s3, v5
	v_cndmask_b32_e32 v20, v6, v16, vcc_lo
	v_cmp_gt_i32_e32 vcc_lo, 32, v17
	s_delay_alu instid0(VALU_DEP_3) | instskip(NEXT) | instid1(VALU_DEP_3)
	v_mul_hi_u32 v22, v5, v19
	v_lshlrev_b32_e32 v19, 2, v20
	v_cndmask_b32_e32 v21, v6, v17, vcc_lo
	v_cmp_gt_i32_e32 vcc_lo, 32, v18
	v_lshlrev_b32_e32 v17, 2, v8
	v_add_nc_u32_e32 v22, v5, v22
	v_cndmask_b32_e32 v6, v6, v18, vcc_lo
	v_lshlrev_b32_e32 v18, 2, v9
	v_lshlrev_b32_e32 v16, 2, v7
	;; [unrolled: 1-line block ×3, first 2 shown]
	s_delay_alu instid0(VALU_DEP_4)
	v_lshlrev_b32_e32 v21, 2, v6
	s_branch .LBB25_7
.LBB25_6:                               ;   in Loop: Header=BB25_7 Depth=1
	s_or_b32 exec_lo, exec_lo, s3
	ds_bpermute_b32 v3, v19, v5
	ds_bpermute_b32 v4, v19, v6
	s_waitcnt lgkmcnt(0)
	buffer_gl0_inv
	v_cmp_lt_i64_e32 vcc_lo, v[3:4], v[5:6]
	v_dual_cndmask_b32 v4, v6, v4 :: v_dual_cndmask_b32 v3, v5, v3
	ds_bpermute_b32 v6, v20, v4
	ds_bpermute_b32 v5, v20, v3
	s_waitcnt lgkmcnt(0)
	v_cmp_lt_i64_e32 vcc_lo, v[5:6], v[3:4]
	v_dual_cndmask_b32 v4, v4, v6 :: v_dual_cndmask_b32 v3, v3, v5
	ds_bpermute_b32 v6, v21, v4
	ds_bpermute_b32 v5, v21, v3
	s_waitcnt lgkmcnt(0)
	;; [unrolled: 5-line block ×5, first 2 shown]
	v_cmp_lt_i64_e32 vcc_lo, v[5:6], v[3:4]
	v_cndmask_b32_e32 v3, v3, v5, vcc_lo
	ds_bpermute_b32 v3, v14, v3
	s_waitcnt lgkmcnt(0)
	v_ashrrev_i32_e32 v4, 31, v3
	s_delay_alu instid0(VALU_DEP_1) | instskip(SKIP_1) | instid1(SALU_CYCLE_1)
	v_cmp_le_i64_e32 vcc_lo, s[6:7], v[3:4]
	s_or_b32 s18, vcc_lo, s18
	s_and_not1_b32 exec_lo, exec_lo, s18
	s_cbranch_execz .LBB25_21
.LBB25_7:                               ; =>This Loop Header: Depth=1
                                        ;     Child Loop BB25_10 Depth 2
	v_mov_b32_e32 v5, s6
	v_dual_mov_b32 v6, s7 :: v_dual_add_nc_u32 v7, v1, v13
	v_mov_b32_e32 v1, v2
	s_mov_b32 s19, exec_lo
	ds_store_b8 v10, v0 offset:32
	s_waitcnt lgkmcnt(0)
	buffer_gl0_inv
	v_cmpx_lt_i32_e64 v7, v2
	s_cbranch_execz .LBB25_19
; %bb.8:                                ;   in Loop: Header=BB25_7 Depth=1
	v_dual_mov_b32 v5, s6 :: v_dual_mov_b32 v6, s7
	v_mov_b32_e32 v24, v2
	s_mov_b32 s20, 0
	s_branch .LBB25_10
.LBB25_9:                               ;   in Loop: Header=BB25_10 Depth=2
	s_or_b32 exec_lo, exec_lo, s3
	s_delay_alu instid0(VALU_DEP_1) | instskip(SKIP_1) | instid1(VALU_DEP_1)
	v_dual_mov_b32 v24, v1 :: v_dual_add_nc_u32 v7, 8, v7
	s_xor_b32 s15, vcc_lo, -1
	v_cmp_ge_i32_e64 s3, v7, v2
	s_delay_alu instid0(VALU_DEP_1) | instskip(NEXT) | instid1(SALU_CYCLE_1)
	s_or_b32 s3, s15, s3
	s_and_b32 s3, exec_lo, s3
	s_delay_alu instid0(SALU_CYCLE_1) | instskip(NEXT) | instid1(SALU_CYCLE_1)
	s_or_b32 s20, s3, s20
	s_and_not1_b32 exec_lo, exec_lo, s20
	s_cbranch_execz .LBB25_18
.LBB25_10:                              ;   Parent Loop BB25_7 Depth=1
                                        ; =>  This Inner Loop Header: Depth=2
	v_ashrrev_i32_e32 v8, 31, v7
	s_mov_b32 s3, exec_lo
	s_delay_alu instid0(VALU_DEP_1) | instskip(NEXT) | instid1(VALU_DEP_1)
	v_lshlrev_b64 v[8:9], 3, v[7:8]
	v_add_co_u32 v8, vcc_lo, s12, v8
	s_delay_alu instid0(VALU_DEP_2) | instskip(SKIP_4) | instid1(VALU_DEP_1)
	v_add_co_ci_u32_e32 v9, vcc_lo, s13, v9, vcc_lo
	global_load_b64 v[8:9], v[8:9], off
	s_waitcnt vmcnt(0)
	v_sub_co_u32 v25, vcc_lo, v8, s9
	v_subrev_co_ci_u32_e32 v26, vcc_lo, 0, v9, vcc_lo
                                        ; implicit-def: $vgpr8_vgpr9
	v_or_b32_e32 v1, s11, v26
	s_delay_alu instid0(VALU_DEP_1)
	v_cmpx_ne_u64_e32 0, v[0:1]
	s_xor_b32 s21, exec_lo, s3
	s_cbranch_execz .LBB25_12
; %bb.11:                               ;   in Loop: Header=BB25_10 Depth=2
	s_add_u32 s16, s10, s14
	s_mov_b32 s15, s14
	s_addc_u32 s17, s11, s14
	s_delay_alu instid0(SALU_CYCLE_1) | instskip(NEXT) | instid1(SALU_CYCLE_1)
	s_xor_b64 s[16:17], s[16:17], s[14:15]
	v_cvt_f32_u32_e32 v1, s16
	v_cvt_f32_u32_e32 v8, s17
	s_sub_u32 s3, 0, s16
	s_subb_u32 s15, 0, s17
	s_delay_alu instid0(VALU_DEP_1) | instskip(NEXT) | instid1(VALU_DEP_1)
	v_fmac_f32_e32 v1, 0x4f800000, v8
	v_rcp_f32_e32 v1, v1
	s_waitcnt_depctr 0xfff
	v_mul_f32_e32 v1, 0x5f7ffffc, v1
	s_delay_alu instid0(VALU_DEP_1) | instskip(NEXT) | instid1(VALU_DEP_1)
	v_mul_f32_e32 v8, 0x2f800000, v1
	v_trunc_f32_e32 v8, v8
	s_delay_alu instid0(VALU_DEP_1) | instskip(SKIP_1) | instid1(VALU_DEP_2)
	v_fmac_f32_e32 v1, 0xcf800000, v8
	v_cvt_u32_f32_e32 v8, v8
	v_cvt_u32_f32_e32 v1, v1
	s_delay_alu instid0(VALU_DEP_2) | instskip(NEXT) | instid1(VALU_DEP_2)
	v_mul_lo_u32 v9, s3, v8
	v_mul_hi_u32 v27, s3, v1
	v_mul_lo_u32 v28, s15, v1
	s_delay_alu instid0(VALU_DEP_2) | instskip(SKIP_1) | instid1(VALU_DEP_2)
	v_add_nc_u32_e32 v9, v27, v9
	v_mul_lo_u32 v27, s3, v1
	v_add_nc_u32_e32 v9, v9, v28
	s_delay_alu instid0(VALU_DEP_2) | instskip(NEXT) | instid1(VALU_DEP_2)
	v_mul_hi_u32 v28, v1, v27
	v_mul_lo_u32 v29, v1, v9
	v_mul_hi_u32 v30, v1, v9
	v_mul_hi_u32 v31, v8, v27
	v_mul_lo_u32 v27, v8, v27
	v_mul_hi_u32 v32, v8, v9
	v_mul_lo_u32 v9, v8, v9
	v_add_co_u32 v28, vcc_lo, v28, v29
	v_add_co_ci_u32_e32 v29, vcc_lo, 0, v30, vcc_lo
	s_delay_alu instid0(VALU_DEP_2) | instskip(NEXT) | instid1(VALU_DEP_2)
	v_add_co_u32 v27, vcc_lo, v28, v27
	v_add_co_ci_u32_e32 v27, vcc_lo, v29, v31, vcc_lo
	v_add_co_ci_u32_e32 v28, vcc_lo, 0, v32, vcc_lo
	v_ashrrev_i32_e32 v31, 31, v26
	s_delay_alu instid0(VALU_DEP_3) | instskip(NEXT) | instid1(VALU_DEP_3)
	v_add_co_u32 v9, vcc_lo, v27, v9
	v_add_co_ci_u32_e32 v27, vcc_lo, 0, v28, vcc_lo
	s_delay_alu instid0(VALU_DEP_2) | instskip(NEXT) | instid1(VALU_DEP_2)
	v_add_co_u32 v1, vcc_lo, v1, v9
	v_add_co_ci_u32_e32 v8, vcc_lo, v8, v27, vcc_lo
	s_delay_alu instid0(VALU_DEP_2) | instskip(SKIP_1) | instid1(VALU_DEP_3)
	v_mul_hi_u32 v9, s3, v1
	v_mul_lo_u32 v28, s15, v1
	v_mul_lo_u32 v27, s3, v8
	s_delay_alu instid0(VALU_DEP_1) | instskip(SKIP_1) | instid1(VALU_DEP_2)
	v_add_nc_u32_e32 v9, v9, v27
	v_mul_lo_u32 v27, s3, v1
	v_add_nc_u32_e32 v9, v9, v28
	s_delay_alu instid0(VALU_DEP_2) | instskip(NEXT) | instid1(VALU_DEP_2)
	v_mul_hi_u32 v28, v1, v27
	v_mul_lo_u32 v29, v1, v9
	v_mul_hi_u32 v30, v1, v9
	v_mul_hi_u32 v32, v8, v27
	v_mul_lo_u32 v27, v8, v27
	v_mul_hi_u32 v33, v8, v9
	v_mul_lo_u32 v9, v8, v9
	v_add_co_u32 v28, vcc_lo, v28, v29
	v_add_co_ci_u32_e32 v29, vcc_lo, 0, v30, vcc_lo
	s_delay_alu instid0(VALU_DEP_2) | instskip(NEXT) | instid1(VALU_DEP_2)
	v_add_co_u32 v27, vcc_lo, v28, v27
	v_add_co_ci_u32_e32 v27, vcc_lo, v29, v32, vcc_lo
	v_add_co_ci_u32_e32 v28, vcc_lo, 0, v33, vcc_lo
	v_add_co_u32 v25, vcc_lo, v25, v31
	v_add_co_ci_u32_e32 v26, vcc_lo, v26, v31, vcc_lo
	s_delay_alu instid0(VALU_DEP_4) | instskip(NEXT) | instid1(VALU_DEP_4)
	v_add_co_u32 v9, vcc_lo, v27, v9
	v_add_co_ci_u32_e32 v27, vcc_lo, 0, v28, vcc_lo
	s_delay_alu instid0(VALU_DEP_4) | instskip(NEXT) | instid1(VALU_DEP_3)
	v_xor_b32_e32 v29, v25, v31
	v_add_co_u32 v1, vcc_lo, v1, v9
	s_delay_alu instid0(VALU_DEP_3) | instskip(SKIP_1) | instid1(VALU_DEP_3)
	v_add_co_ci_u32_e32 v30, vcc_lo, v8, v27, vcc_lo
	v_xor_b32_e32 v32, v26, v31
	v_mul_hi_u32 v33, v29, v1
	s_delay_alu instid0(VALU_DEP_3) | instskip(NEXT) | instid1(VALU_DEP_3)
	v_mad_u64_u32 v[8:9], null, v29, v30, 0
	v_mad_u64_u32 v[25:26], null, v32, v1, 0
	;; [unrolled: 1-line block ×3, first 2 shown]
	s_delay_alu instid0(VALU_DEP_3) | instskip(NEXT) | instid1(VALU_DEP_4)
	v_add_co_u32 v1, vcc_lo, v33, v8
	v_add_co_ci_u32_e32 v8, vcc_lo, 0, v9, vcc_lo
	s_delay_alu instid0(VALU_DEP_2) | instskip(NEXT) | instid1(VALU_DEP_2)
	v_add_co_u32 v1, vcc_lo, v1, v25
	v_add_co_ci_u32_e32 v1, vcc_lo, v8, v26, vcc_lo
	v_add_co_ci_u32_e32 v8, vcc_lo, 0, v28, vcc_lo
	s_delay_alu instid0(VALU_DEP_2) | instskip(NEXT) | instid1(VALU_DEP_2)
	v_add_co_u32 v1, vcc_lo, v1, v27
	v_add_co_ci_u32_e32 v25, vcc_lo, 0, v8, vcc_lo
	s_delay_alu instid0(VALU_DEP_2) | instskip(SKIP_1) | instid1(VALU_DEP_3)
	v_mul_lo_u32 v26, s17, v1
	v_mad_u64_u32 v[8:9], null, s16, v1, 0
	v_mul_lo_u32 v27, s16, v25
	s_delay_alu instid0(VALU_DEP_2) | instskip(NEXT) | instid1(VALU_DEP_2)
	v_sub_co_u32 v8, vcc_lo, v29, v8
	v_add3_u32 v9, v9, v27, v26
	s_delay_alu instid0(VALU_DEP_1) | instskip(NEXT) | instid1(VALU_DEP_1)
	v_sub_nc_u32_e32 v26, v32, v9
	v_subrev_co_ci_u32_e64 v26, s3, s17, v26, vcc_lo
	v_add_co_u32 v27, s3, v1, 2
	s_delay_alu instid0(VALU_DEP_1) | instskip(SKIP_3) | instid1(VALU_DEP_3)
	v_add_co_ci_u32_e64 v28, s3, 0, v25, s3
	v_sub_co_u32 v29, s3, v8, s16
	v_sub_co_ci_u32_e32 v9, vcc_lo, v32, v9, vcc_lo
	v_subrev_co_ci_u32_e64 v26, s3, 0, v26, s3
	v_cmp_le_u32_e32 vcc_lo, s16, v29
	s_delay_alu instid0(VALU_DEP_3) | instskip(SKIP_1) | instid1(VALU_DEP_4)
	v_cmp_eq_u32_e64 s3, s17, v9
	v_cndmask_b32_e64 v29, 0, -1, vcc_lo
	v_cmp_le_u32_e32 vcc_lo, s17, v26
	v_cndmask_b32_e64 v30, 0, -1, vcc_lo
	v_cmp_le_u32_e32 vcc_lo, s16, v8
	;; [unrolled: 2-line block ×3, first 2 shown]
	v_cndmask_b32_e64 v32, 0, -1, vcc_lo
	v_cmp_eq_u32_e32 vcc_lo, s17, v26
	s_delay_alu instid0(VALU_DEP_2) | instskip(SKIP_3) | instid1(VALU_DEP_3)
	v_cndmask_b32_e64 v8, v32, v8, s3
	v_cndmask_b32_e32 v26, v30, v29, vcc_lo
	v_add_co_u32 v29, vcc_lo, v1, 1
	v_add_co_ci_u32_e32 v30, vcc_lo, 0, v25, vcc_lo
	v_cmp_ne_u32_e32 vcc_lo, 0, v26
	s_delay_alu instid0(VALU_DEP_2) | instskip(SKIP_2) | instid1(VALU_DEP_3)
	v_dual_cndmask_b32 v9, v30, v28 :: v_dual_cndmask_b32 v26, v29, v27
	v_cmp_ne_u32_e32 vcc_lo, 0, v8
	v_xor_b32_e32 v27, s14, v31
	v_cndmask_b32_e32 v8, v25, v9, vcc_lo
	s_delay_alu instid0(VALU_DEP_4) | instskip(NEXT) | instid1(VALU_DEP_2)
	v_cndmask_b32_e32 v1, v1, v26, vcc_lo
                                        ; implicit-def: $vgpr25
	v_xor_b32_e32 v9, v8, v27
	s_delay_alu instid0(VALU_DEP_2) | instskip(NEXT) | instid1(VALU_DEP_1)
	v_xor_b32_e32 v1, v1, v27
	v_sub_co_u32 v8, vcc_lo, v1, v27
	s_delay_alu instid0(VALU_DEP_3)
	v_sub_co_ci_u32_e32 v9, vcc_lo, v9, v27, vcc_lo
.LBB25_12:                              ;   in Loop: Header=BB25_10 Depth=2
	s_and_not1_saveexec_b32 s3, s21
; %bb.13:                               ;   in Loop: Header=BB25_10 Depth=2
	v_mul_hi_u32 v1, v25, v22
	s_delay_alu instid0(VALU_DEP_1) | instskip(SKIP_1) | instid1(VALU_DEP_2)
	v_mul_lo_u32 v8, v1, s10
	v_add_nc_u32_e32 v9, 1, v1
	v_sub_nc_u32_e32 v8, v25, v8
	s_delay_alu instid0(VALU_DEP_1) | instskip(SKIP_1) | instid1(VALU_DEP_2)
	v_subrev_nc_u32_e32 v25, s10, v8
	v_cmp_le_u32_e32 vcc_lo, s10, v8
	v_cndmask_b32_e32 v8, v8, v25, vcc_lo
	v_cndmask_b32_e32 v1, v1, v9, vcc_lo
	s_delay_alu instid0(VALU_DEP_2) | instskip(NEXT) | instid1(VALU_DEP_2)
	v_cmp_le_u32_e32 vcc_lo, s10, v8
	v_add_nc_u32_e32 v9, 1, v1
	s_delay_alu instid0(VALU_DEP_1)
	v_dual_cndmask_b32 v8, v1, v9 :: v_dual_mov_b32 v9, v0
; %bb.14:                               ;   in Loop: Header=BB25_10 Depth=2
	s_or_b32 exec_lo, exec_lo, s3
	s_delay_alu instid0(VALU_DEP_1)
	v_cmp_eq_u64_e32 vcc_lo, v[8:9], v[3:4]
	s_mov_b32 s15, exec_lo
	v_cmpx_ne_u64_e64 v[8:9], v[3:4]
	s_xor_b32 s15, exec_lo, s15
; %bb.15:                               ;   in Loop: Header=BB25_10 Depth=2
	v_cmp_lt_i64_e64 s3, v[8:9], v[5:6]
                                        ; implicit-def: $vgpr24
	s_delay_alu instid0(VALU_DEP_1)
	v_cndmask_b32_e64 v6, v6, v9, s3
	v_cndmask_b32_e64 v5, v5, v8, s3
; %bb.16:                               ;   in Loop: Header=BB25_10 Depth=2
	s_or_saveexec_b32 s3, s15
	v_mov_b32_e32 v1, v7
	s_xor_b32 exec_lo, exec_lo, s3
	s_cbranch_execz .LBB25_9
; %bb.17:                               ;   in Loop: Header=BB25_10 Depth=2
	v_mov_b32_e32 v1, v24
	ds_store_b8 v10, v23 offset:32
	s_branch .LBB25_9
.LBB25_18:                              ;   in Loop: Header=BB25_7 Depth=1
	s_or_b32 exec_lo, exec_lo, s20
.LBB25_19:                              ;   in Loop: Header=BB25_7 Depth=1
	s_delay_alu instid0(SALU_CYCLE_1)
	s_or_b32 exec_lo, exec_lo, s19
	ds_bpermute_b32 v3, v16, v1
	s_waitcnt lgkmcnt(0)
	buffer_gl0_inv
	ds_load_u8 v4, v10 offset:32
	v_min_i32_e32 v1, v3, v1
	ds_bpermute_b32 v3, v17, v1
	s_waitcnt lgkmcnt(0)
	v_min_i32_e32 v1, v3, v1
	ds_bpermute_b32 v3, v18, v1
	s_waitcnt lgkmcnt(0)
	v_min_i32_e32 v1, v3, v1
	v_and_b32_e32 v3, 1, v4
	ds_bpermute_b32 v1, v15, v1
	v_cmp_eq_u32_e32 vcc_lo, 1, v3
	s_and_b32 s15, s2, vcc_lo
	s_delay_alu instid0(SALU_CYCLE_1)
	s_and_saveexec_b32 s3, s15
	s_cbranch_execz .LBB25_6
; %bb.20:                               ;   in Loop: Header=BB25_7 Depth=1
	ds_load_b64 v[3:4], v11
	s_waitcnt lgkmcnt(0)
	v_add_co_u32 v3, vcc_lo, v3, 1
	v_add_co_ci_u32_e32 v4, vcc_lo, 0, v4, vcc_lo
	ds_store_b64 v11, v[3:4]
	s_branch .LBB25_6
.LBB25_21:
	s_or_b32 exec_lo, exec_lo, s18
.LBB25_22:
	s_delay_alu instid0(SALU_CYCLE_1)
	s_mov_b32 s2, exec_lo
	v_cmpx_eq_u32_e32 0, v12
	s_cbranch_execz .LBB25_25
; %bb.23:
	s_clause 0x1
	s_load_b32 s2, s[0:1], 0x40
	s_load_b64 s[0:1], s[0:1], 0x48
	v_mov_b32_e32 v1, 0
	v_lshl_or_b32 v0, s8, 2, v10
	s_waitcnt lgkmcnt(0)
	v_mov_b32_e32 v2, s2
	s_delay_alu instid0(VALU_DEP_2)
	v_cmp_gt_i64_e32 vcc_lo, s[4:5], v[0:1]
	global_store_b32 v1, v2, s[0:1]
	s_and_b32 exec_lo, exec_lo, vcc_lo
	s_cbranch_execz .LBB25_25
; %bb.24:
	ds_load_b32 v2, v11
	v_add_nc_u32_e32 v0, 1, v0
	s_delay_alu instid0(VALU_DEP_1) | instskip(NEXT) | instid1(VALU_DEP_1)
	v_lshlrev_b64 v[0:1], 2, v[0:1]
	v_add_co_u32 v0, vcc_lo, s0, v0
	s_delay_alu instid0(VALU_DEP_2)
	v_add_co_ci_u32_e32 v1, vcc_lo, s1, v1, vcc_lo
	s_waitcnt lgkmcnt(0)
	global_store_b32 v[0:1], v2, off
.LBB25_25:
	s_nop 0
	s_sendmsg sendmsg(MSG_DEALLOC_VGPRS)
	s_endpgm
	.section	.rodata,"a",@progbits
	.p2align	6, 0x0
	.amdhsa_kernel _ZN9rocsparseL46csr2bsr_nnz_wavefront_per_row_multipass_kernelILj256ELj64ELj8EilEEvT3_S1_S1_S1_S1_21rocsparse_index_base_PKT2_PKS1_S2_PS3_
		.amdhsa_group_segment_fixed_size 40
		.amdhsa_private_segment_fixed_size 0
		.amdhsa_kernarg_size 80
		.amdhsa_user_sgpr_count 15
		.amdhsa_user_sgpr_dispatch_ptr 0
		.amdhsa_user_sgpr_queue_ptr 0
		.amdhsa_user_sgpr_kernarg_segment_ptr 1
		.amdhsa_user_sgpr_dispatch_id 0
		.amdhsa_user_sgpr_private_segment_size 0
		.amdhsa_wavefront_size32 1
		.amdhsa_uses_dynamic_stack 0
		.amdhsa_enable_private_segment 0
		.amdhsa_system_sgpr_workgroup_id_x 1
		.amdhsa_system_sgpr_workgroup_id_y 0
		.amdhsa_system_sgpr_workgroup_id_z 0
		.amdhsa_system_sgpr_workgroup_info 0
		.amdhsa_system_vgpr_workitem_id 0
		.amdhsa_next_free_vgpr 34
		.amdhsa_next_free_sgpr 22
		.amdhsa_reserve_vcc 1
		.amdhsa_float_round_mode_32 0
		.amdhsa_float_round_mode_16_64 0
		.amdhsa_float_denorm_mode_32 3
		.amdhsa_float_denorm_mode_16_64 3
		.amdhsa_dx10_clamp 1
		.amdhsa_ieee_mode 1
		.amdhsa_fp16_overflow 0
		.amdhsa_workgroup_processor_mode 1
		.amdhsa_memory_ordered 1
		.amdhsa_forward_progress 0
		.amdhsa_shared_vgpr_count 0
		.amdhsa_exception_fp_ieee_invalid_op 0
		.amdhsa_exception_fp_denorm_src 0
		.amdhsa_exception_fp_ieee_div_zero 0
		.amdhsa_exception_fp_ieee_overflow 0
		.amdhsa_exception_fp_ieee_underflow 0
		.amdhsa_exception_fp_ieee_inexact 0
		.amdhsa_exception_int_div_zero 0
	.end_amdhsa_kernel
	.section	.text._ZN9rocsparseL46csr2bsr_nnz_wavefront_per_row_multipass_kernelILj256ELj64ELj8EilEEvT3_S1_S1_S1_S1_21rocsparse_index_base_PKT2_PKS1_S2_PS3_,"axG",@progbits,_ZN9rocsparseL46csr2bsr_nnz_wavefront_per_row_multipass_kernelILj256ELj64ELj8EilEEvT3_S1_S1_S1_S1_21rocsparse_index_base_PKT2_PKS1_S2_PS3_,comdat
.Lfunc_end25:
	.size	_ZN9rocsparseL46csr2bsr_nnz_wavefront_per_row_multipass_kernelILj256ELj64ELj8EilEEvT3_S1_S1_S1_S1_21rocsparse_index_base_PKT2_PKS1_S2_PS3_, .Lfunc_end25-_ZN9rocsparseL46csr2bsr_nnz_wavefront_per_row_multipass_kernelILj256ELj64ELj8EilEEvT3_S1_S1_S1_S1_21rocsparse_index_base_PKT2_PKS1_S2_PS3_
                                        ; -- End function
	.section	.AMDGPU.csdata,"",@progbits
; Kernel info:
; codeLenInByte = 2240
; NumSgprs: 24
; NumVgprs: 34
; ScratchSize: 0
; MemoryBound: 0
; FloatMode: 240
; IeeeMode: 1
; LDSByteSize: 40 bytes/workgroup (compile time only)
; SGPRBlocks: 2
; VGPRBlocks: 4
; NumSGPRsForWavesPerEU: 24
; NumVGPRsForWavesPerEU: 34
; Occupancy: 16
; WaveLimiterHint : 0
; COMPUTE_PGM_RSRC2:SCRATCH_EN: 0
; COMPUTE_PGM_RSRC2:USER_SGPR: 15
; COMPUTE_PGM_RSRC2:TRAP_HANDLER: 0
; COMPUTE_PGM_RSRC2:TGID_X_EN: 1
; COMPUTE_PGM_RSRC2:TGID_Y_EN: 0
; COMPUTE_PGM_RSRC2:TGID_Z_EN: 0
; COMPUTE_PGM_RSRC2:TIDIG_COMP_CNT: 0
	.section	.text._ZN9rocsparseL46csr2bsr_nnz_wavefront_per_row_multipass_kernelILj256ELj32ELj8EilEEvT3_S1_S1_S1_S1_21rocsparse_index_base_PKT2_PKS1_S2_PS3_,"axG",@progbits,_ZN9rocsparseL46csr2bsr_nnz_wavefront_per_row_multipass_kernelILj256ELj32ELj8EilEEvT3_S1_S1_S1_S1_21rocsparse_index_base_PKT2_PKS1_S2_PS3_,comdat
	.globl	_ZN9rocsparseL46csr2bsr_nnz_wavefront_per_row_multipass_kernelILj256ELj32ELj8EilEEvT3_S1_S1_S1_S1_21rocsparse_index_base_PKT2_PKS1_S2_PS3_ ; -- Begin function _ZN9rocsparseL46csr2bsr_nnz_wavefront_per_row_multipass_kernelILj256ELj32ELj8EilEEvT3_S1_S1_S1_S1_21rocsparse_index_base_PKT2_PKS1_S2_PS3_
	.p2align	8
	.type	_ZN9rocsparseL46csr2bsr_nnz_wavefront_per_row_multipass_kernelILj256ELj32ELj8EilEEvT3_S1_S1_S1_S1_21rocsparse_index_base_PKT2_PKS1_S2_PS3_,@function
_ZN9rocsparseL46csr2bsr_nnz_wavefront_per_row_multipass_kernelILj256ELj32ELj8EilEEvT3_S1_S1_S1_S1_21rocsparse_index_base_PKT2_PKS1_S2_PS3_: ; @_ZN9rocsparseL46csr2bsr_nnz_wavefront_per_row_multipass_kernelILj256ELj32ELj8EilEEvT3_S1_S1_S1_S1_21rocsparse_index_base_PKT2_PKS1_S2_PS3_
; %bb.0:
	s_load_b64 s[10:11], s[0:1], 0x20
	v_lshrrev_b32_e32 v10, 5, v0
	s_mov_b32 s8, s15
	s_ashr_i32 s9, s15, 31
	s_clause 0x1
	s_load_b64 s[14:15], s[0:1], 0x0
	s_load_b128 s[4:7], s[0:1], 0x10
	s_lshl_b64 s[2:3], s[8:9], 3
	v_dual_mov_b32 v2, 0 :: v_dual_lshlrev_b32 v11, 3, v10
	v_or_b32_e32 v5, s2, v10
	v_bfe_u32 v1, v0, 2, 3
	s_clause 0x1
	s_load_b32 s9, s[0:1], 0x28
	s_load_b64 s[12:13], s[0:1], 0x30
	s_waitcnt lgkmcnt(0)
	v_mul_lo_u32 v6, v5, s11
	v_mad_u64_u32 v[3:4], null, v5, s10, v[1:2]
	s_mul_i32 s2, s3, s10
	v_mov_b32_e32 v5, v2
	s_delay_alu instid0(VALU_DEP_2) | instskip(SKIP_2) | instid1(VALU_DEP_3)
	v_add3_u32 v4, s2, v4, v6
	v_cmp_gt_i64_e64 s2, s[10:11], v[1:2]
	v_dual_mov_b32 v6, v2 :: v_dual_mov_b32 v1, 0
	v_cmp_gt_i64_e32 vcc_lo, s[14:15], v[3:4]
	ds_store_b64 v11, v[5:6]
	s_waitcnt lgkmcnt(0)
	s_barrier
	buffer_gl0_inv
	s_and_b32 s2, s2, vcc_lo
	s_delay_alu instid0(SALU_CYCLE_1)
	s_and_saveexec_b32 s3, s2
	s_cbranch_execz .LBB26_2
; %bb.1:
	v_lshlrev_b64 v[5:6], 2, v[3:4]
	s_delay_alu instid0(VALU_DEP_1) | instskip(NEXT) | instid1(VALU_DEP_2)
	v_add_co_u32 v5, vcc_lo, s12, v5
	v_add_co_ci_u32_e32 v6, vcc_lo, s13, v6, vcc_lo
	global_load_b32 v1, v[5:6], off
	s_waitcnt vmcnt(0)
	v_subrev_nc_u32_e32 v1, s9, v1
.LBB26_2:
	s_or_b32 exec_lo, exec_lo, s3
	s_and_saveexec_b32 s3, s2
	s_cbranch_execz .LBB26_4
; %bb.3:
	v_lshlrev_b64 v[2:3], 2, v[3:4]
	s_delay_alu instid0(VALU_DEP_1) | instskip(NEXT) | instid1(VALU_DEP_2)
	v_add_co_u32 v2, vcc_lo, s12, v2
	v_add_co_ci_u32_e32 v3, vcc_lo, s13, v3, vcc_lo
	global_load_b32 v2, v[2:3], off offset:4
	s_waitcnt vmcnt(0)
	v_subrev_nc_u32_e32 v2, s9, v2
.LBB26_4:
	s_or_b32 exec_lo, exec_lo, s3
	v_cmp_lt_i64_e64 s2, s[6:7], 1
	v_and_b32_e32 v12, 31, v0
	s_delay_alu instid0(VALU_DEP_2) | instskip(NEXT) | instid1(VALU_DEP_1)
	s_and_b32 vcc_lo, exec_lo, s2
	v_cmp_eq_u32_e64 s2, 0, v12
	s_cbranch_vccnz .LBB26_22
; %bb.5:
	v_cvt_f32_u32_e32 v3, s10
	v_mbcnt_lo_u32_b32 v6, -1, 0
	s_sub_i32 s3, 0, s10
	s_load_b64 s[12:13], s[0:1], 0x38
	v_dual_mov_b32 v14, 0x7c :: v_dual_and_b32 v13, 3, v0
	v_rcp_iflag_f32_e32 v5, v3
	v_xor_b32_e32 v7, 2, v6
	v_xor_b32_e32 v8, 1, v6
	v_dual_mov_b32 v3, 0 :: v_dual_mov_b32 v0, 0
	v_mov_b32_e32 v4, 0
	s_delay_alu instid0(VALU_DEP_4) | instskip(SKIP_3) | instid1(TRANS32_DEP_1)
	v_cmp_gt_i32_e32 vcc_lo, 32, v7
	v_xor_b32_e32 v9, 16, v6
	v_xor_b32_e32 v16, 8, v6
	;; [unrolled: 1-line block ×3, first 2 shown]
	v_mul_f32_e32 v5, 0x4f7ffffe, v5
	v_cndmask_b32_e32 v7, v6, v7, vcc_lo
	v_cmp_gt_i32_e32 vcc_lo, 32, v8
	v_lshl_or_b32 v15, v6, 2, 12
	s_mov_b32 s18, 0
	v_cvt_u32_f32_e32 v5, v5
	s_ashr_i32 s14, s11, 31
	v_cndmask_b32_e32 v8, v6, v8, vcc_lo
	v_cmp_gt_i32_e32 vcc_lo, 32, v9
	v_mov_b32_e32 v22, 1
	v_mul_lo_u32 v18, s3, v5
	v_cndmask_b32_e32 v9, v6, v9, vcc_lo
	v_cmp_gt_i32_e32 vcc_lo, 32, v16
	s_delay_alu instid0(VALU_DEP_3)
	v_mul_hi_u32 v21, v5, v18
	v_cndmask_b32_e32 v19, v6, v16, vcc_lo
	v_cmp_gt_i32_e32 vcc_lo, 32, v17
	v_lshlrev_b32_e32 v18, 2, v9
	v_lshlrev_b32_e32 v16, 2, v7
	v_cndmask_b32_e32 v6, v6, v17, vcc_lo
	v_add_nc_u32_e32 v21, v5, v21
	s_delay_alu instid0(VALU_DEP_2)
	v_lshlrev_b32_e32 v20, 2, v6
	v_lshlrev_b32_e32 v19, 2, v19
	;; [unrolled: 1-line block ×3, first 2 shown]
	s_branch .LBB26_7
.LBB26_6:                               ;   in Loop: Header=BB26_7 Depth=1
	s_or_b32 exec_lo, exec_lo, s3
	ds_bpermute_b32 v3, v18, v5
	ds_bpermute_b32 v4, v18, v6
	s_waitcnt lgkmcnt(0)
	buffer_gl0_inv
	v_cmp_lt_i64_e32 vcc_lo, v[3:4], v[5:6]
	v_dual_cndmask_b32 v4, v6, v4 :: v_dual_cndmask_b32 v3, v5, v3
	ds_bpermute_b32 v6, v19, v4
	ds_bpermute_b32 v5, v19, v3
	s_waitcnt lgkmcnt(0)
	v_cmp_lt_i64_e32 vcc_lo, v[5:6], v[3:4]
	v_dual_cndmask_b32 v4, v4, v6 :: v_dual_cndmask_b32 v3, v3, v5
	ds_bpermute_b32 v6, v20, v4
	ds_bpermute_b32 v5, v20, v3
	s_waitcnt lgkmcnt(0)
	;; [unrolled: 5-line block ×4, first 2 shown]
	v_cmp_lt_i64_e32 vcc_lo, v[5:6], v[3:4]
	v_cndmask_b32_e32 v3, v3, v5, vcc_lo
	ds_bpermute_b32 v3, v14, v3
	s_waitcnt lgkmcnt(0)
	v_ashrrev_i32_e32 v4, 31, v3
	s_delay_alu instid0(VALU_DEP_1) | instskip(SKIP_1) | instid1(SALU_CYCLE_1)
	v_cmp_le_i64_e32 vcc_lo, s[6:7], v[3:4]
	s_or_b32 s18, vcc_lo, s18
	s_and_not1_b32 exec_lo, exec_lo, s18
	s_cbranch_execz .LBB26_21
.LBB26_7:                               ; =>This Loop Header: Depth=1
                                        ;     Child Loop BB26_10 Depth 2
	v_mov_b32_e32 v5, s6
	v_dual_mov_b32 v6, s7 :: v_dual_add_nc_u32 v7, v1, v13
	v_mov_b32_e32 v1, v2
	s_mov_b32 s19, exec_lo
	ds_store_b8 v10, v0 offset:64
	s_waitcnt lgkmcnt(0)
	buffer_gl0_inv
	v_cmpx_lt_i32_e64 v7, v2
	s_cbranch_execz .LBB26_19
; %bb.8:                                ;   in Loop: Header=BB26_7 Depth=1
	v_dual_mov_b32 v5, s6 :: v_dual_mov_b32 v6, s7
	v_mov_b32_e32 v23, v2
	s_mov_b32 s20, 0
	s_branch .LBB26_10
.LBB26_9:                               ;   in Loop: Header=BB26_10 Depth=2
	s_or_b32 exec_lo, exec_lo, s3
	v_add_nc_u32_e32 v7, 4, v7
	s_xor_b32 s15, vcc_lo, -1
	v_mov_b32_e32 v23, v1
	s_delay_alu instid0(VALU_DEP_2) | instskip(NEXT) | instid1(VALU_DEP_1)
	v_cmp_ge_i32_e64 s3, v7, v2
	s_or_b32 s3, s15, s3
	s_delay_alu instid0(SALU_CYCLE_1) | instskip(NEXT) | instid1(SALU_CYCLE_1)
	s_and_b32 s3, exec_lo, s3
	s_or_b32 s20, s3, s20
	s_delay_alu instid0(SALU_CYCLE_1)
	s_and_not1_b32 exec_lo, exec_lo, s20
	s_cbranch_execz .LBB26_18
.LBB26_10:                              ;   Parent Loop BB26_7 Depth=1
                                        ; =>  This Inner Loop Header: Depth=2
	v_ashrrev_i32_e32 v8, 31, v7
	s_mov_b32 s3, exec_lo
	s_delay_alu instid0(VALU_DEP_1) | instskip(NEXT) | instid1(VALU_DEP_1)
	v_lshlrev_b64 v[8:9], 3, v[7:8]
	v_add_co_u32 v8, vcc_lo, s12, v8
	s_delay_alu instid0(VALU_DEP_2) | instskip(SKIP_4) | instid1(VALU_DEP_1)
	v_add_co_ci_u32_e32 v9, vcc_lo, s13, v9, vcc_lo
	global_load_b64 v[8:9], v[8:9], off
	s_waitcnt vmcnt(0)
	v_sub_co_u32 v24, vcc_lo, v8, s9
	v_subrev_co_ci_u32_e32 v25, vcc_lo, 0, v9, vcc_lo
                                        ; implicit-def: $vgpr8_vgpr9
	v_or_b32_e32 v1, s11, v25
	s_delay_alu instid0(VALU_DEP_1)
	v_cmpx_ne_u64_e32 0, v[0:1]
	s_xor_b32 s21, exec_lo, s3
	s_cbranch_execz .LBB26_12
; %bb.11:                               ;   in Loop: Header=BB26_10 Depth=2
	s_add_u32 s16, s10, s14
	s_mov_b32 s15, s14
	s_addc_u32 s17, s11, s14
	s_delay_alu instid0(SALU_CYCLE_1) | instskip(NEXT) | instid1(SALU_CYCLE_1)
	s_xor_b64 s[16:17], s[16:17], s[14:15]
	v_cvt_f32_u32_e32 v1, s16
	v_cvt_f32_u32_e32 v8, s17
	s_sub_u32 s3, 0, s16
	s_subb_u32 s15, 0, s17
	s_delay_alu instid0(VALU_DEP_1) | instskip(NEXT) | instid1(VALU_DEP_1)
	v_fmac_f32_e32 v1, 0x4f800000, v8
	v_rcp_f32_e32 v1, v1
	s_waitcnt_depctr 0xfff
	v_mul_f32_e32 v1, 0x5f7ffffc, v1
	s_delay_alu instid0(VALU_DEP_1) | instskip(NEXT) | instid1(VALU_DEP_1)
	v_mul_f32_e32 v8, 0x2f800000, v1
	v_trunc_f32_e32 v8, v8
	s_delay_alu instid0(VALU_DEP_1) | instskip(SKIP_1) | instid1(VALU_DEP_2)
	v_fmac_f32_e32 v1, 0xcf800000, v8
	v_cvt_u32_f32_e32 v8, v8
	v_cvt_u32_f32_e32 v1, v1
	s_delay_alu instid0(VALU_DEP_2) | instskip(NEXT) | instid1(VALU_DEP_2)
	v_mul_lo_u32 v9, s3, v8
	v_mul_hi_u32 v26, s3, v1
	v_mul_lo_u32 v27, s15, v1
	s_delay_alu instid0(VALU_DEP_2) | instskip(SKIP_1) | instid1(VALU_DEP_2)
	v_add_nc_u32_e32 v9, v26, v9
	v_mul_lo_u32 v26, s3, v1
	v_add_nc_u32_e32 v9, v9, v27
	s_delay_alu instid0(VALU_DEP_2) | instskip(NEXT) | instid1(VALU_DEP_2)
	v_mul_hi_u32 v27, v1, v26
	v_mul_lo_u32 v28, v1, v9
	v_mul_hi_u32 v29, v1, v9
	v_mul_hi_u32 v30, v8, v26
	v_mul_lo_u32 v26, v8, v26
	v_mul_hi_u32 v31, v8, v9
	v_mul_lo_u32 v9, v8, v9
	v_add_co_u32 v27, vcc_lo, v27, v28
	v_add_co_ci_u32_e32 v28, vcc_lo, 0, v29, vcc_lo
	s_delay_alu instid0(VALU_DEP_2) | instskip(NEXT) | instid1(VALU_DEP_2)
	v_add_co_u32 v26, vcc_lo, v27, v26
	v_add_co_ci_u32_e32 v26, vcc_lo, v28, v30, vcc_lo
	v_add_co_ci_u32_e32 v27, vcc_lo, 0, v31, vcc_lo
	v_ashrrev_i32_e32 v30, 31, v25
	s_delay_alu instid0(VALU_DEP_3) | instskip(NEXT) | instid1(VALU_DEP_3)
	v_add_co_u32 v9, vcc_lo, v26, v9
	v_add_co_ci_u32_e32 v26, vcc_lo, 0, v27, vcc_lo
	s_delay_alu instid0(VALU_DEP_2) | instskip(NEXT) | instid1(VALU_DEP_2)
	v_add_co_u32 v1, vcc_lo, v1, v9
	v_add_co_ci_u32_e32 v8, vcc_lo, v8, v26, vcc_lo
	s_delay_alu instid0(VALU_DEP_2) | instskip(SKIP_1) | instid1(VALU_DEP_3)
	v_mul_hi_u32 v9, s3, v1
	v_mul_lo_u32 v27, s15, v1
	v_mul_lo_u32 v26, s3, v8
	s_delay_alu instid0(VALU_DEP_1) | instskip(SKIP_1) | instid1(VALU_DEP_2)
	v_add_nc_u32_e32 v9, v9, v26
	v_mul_lo_u32 v26, s3, v1
	v_add_nc_u32_e32 v9, v9, v27
	s_delay_alu instid0(VALU_DEP_2) | instskip(NEXT) | instid1(VALU_DEP_2)
	v_mul_hi_u32 v27, v1, v26
	v_mul_lo_u32 v28, v1, v9
	v_mul_hi_u32 v29, v1, v9
	v_mul_hi_u32 v31, v8, v26
	v_mul_lo_u32 v26, v8, v26
	v_mul_hi_u32 v32, v8, v9
	v_mul_lo_u32 v9, v8, v9
	v_add_co_u32 v27, vcc_lo, v27, v28
	v_add_co_ci_u32_e32 v28, vcc_lo, 0, v29, vcc_lo
	s_delay_alu instid0(VALU_DEP_2) | instskip(NEXT) | instid1(VALU_DEP_2)
	v_add_co_u32 v26, vcc_lo, v27, v26
	v_add_co_ci_u32_e32 v26, vcc_lo, v28, v31, vcc_lo
	v_add_co_ci_u32_e32 v27, vcc_lo, 0, v32, vcc_lo
	v_add_co_u32 v24, vcc_lo, v24, v30
	v_add_co_ci_u32_e32 v25, vcc_lo, v25, v30, vcc_lo
	s_delay_alu instid0(VALU_DEP_4) | instskip(NEXT) | instid1(VALU_DEP_4)
	v_add_co_u32 v9, vcc_lo, v26, v9
	v_add_co_ci_u32_e32 v26, vcc_lo, 0, v27, vcc_lo
	s_delay_alu instid0(VALU_DEP_4) | instskip(NEXT) | instid1(VALU_DEP_3)
	v_xor_b32_e32 v28, v24, v30
	v_add_co_u32 v1, vcc_lo, v1, v9
	s_delay_alu instid0(VALU_DEP_3) | instskip(SKIP_1) | instid1(VALU_DEP_3)
	v_add_co_ci_u32_e32 v29, vcc_lo, v8, v26, vcc_lo
	v_xor_b32_e32 v31, v25, v30
	v_mul_hi_u32 v32, v28, v1
	s_delay_alu instid0(VALU_DEP_3) | instskip(NEXT) | instid1(VALU_DEP_3)
	v_mad_u64_u32 v[8:9], null, v28, v29, 0
	v_mad_u64_u32 v[24:25], null, v31, v1, 0
	;; [unrolled: 1-line block ×3, first 2 shown]
	s_delay_alu instid0(VALU_DEP_3) | instskip(NEXT) | instid1(VALU_DEP_4)
	v_add_co_u32 v1, vcc_lo, v32, v8
	v_add_co_ci_u32_e32 v8, vcc_lo, 0, v9, vcc_lo
	s_delay_alu instid0(VALU_DEP_2) | instskip(NEXT) | instid1(VALU_DEP_2)
	v_add_co_u32 v1, vcc_lo, v1, v24
	v_add_co_ci_u32_e32 v1, vcc_lo, v8, v25, vcc_lo
	v_add_co_ci_u32_e32 v8, vcc_lo, 0, v27, vcc_lo
	s_delay_alu instid0(VALU_DEP_2) | instskip(NEXT) | instid1(VALU_DEP_2)
	v_add_co_u32 v1, vcc_lo, v1, v26
	v_add_co_ci_u32_e32 v24, vcc_lo, 0, v8, vcc_lo
	s_delay_alu instid0(VALU_DEP_2) | instskip(SKIP_1) | instid1(VALU_DEP_3)
	v_mul_lo_u32 v25, s17, v1
	v_mad_u64_u32 v[8:9], null, s16, v1, 0
	v_mul_lo_u32 v26, s16, v24
	s_delay_alu instid0(VALU_DEP_2) | instskip(NEXT) | instid1(VALU_DEP_2)
	v_sub_co_u32 v8, vcc_lo, v28, v8
	v_add3_u32 v9, v9, v26, v25
	s_delay_alu instid0(VALU_DEP_1) | instskip(NEXT) | instid1(VALU_DEP_1)
	v_sub_nc_u32_e32 v25, v31, v9
	v_subrev_co_ci_u32_e64 v25, s3, s17, v25, vcc_lo
	v_add_co_u32 v26, s3, v1, 2
	s_delay_alu instid0(VALU_DEP_1) | instskip(SKIP_3) | instid1(VALU_DEP_3)
	v_add_co_ci_u32_e64 v27, s3, 0, v24, s3
	v_sub_co_u32 v28, s3, v8, s16
	v_sub_co_ci_u32_e32 v9, vcc_lo, v31, v9, vcc_lo
	v_subrev_co_ci_u32_e64 v25, s3, 0, v25, s3
	v_cmp_le_u32_e32 vcc_lo, s16, v28
	s_delay_alu instid0(VALU_DEP_3) | instskip(SKIP_1) | instid1(VALU_DEP_4)
	v_cmp_eq_u32_e64 s3, s17, v9
	v_cndmask_b32_e64 v28, 0, -1, vcc_lo
	v_cmp_le_u32_e32 vcc_lo, s17, v25
	v_cndmask_b32_e64 v29, 0, -1, vcc_lo
	v_cmp_le_u32_e32 vcc_lo, s16, v8
	;; [unrolled: 2-line block ×3, first 2 shown]
	v_cndmask_b32_e64 v31, 0, -1, vcc_lo
	v_cmp_eq_u32_e32 vcc_lo, s17, v25
	s_delay_alu instid0(VALU_DEP_2) | instskip(SKIP_3) | instid1(VALU_DEP_3)
	v_cndmask_b32_e64 v8, v31, v8, s3
	v_cndmask_b32_e32 v25, v29, v28, vcc_lo
	v_add_co_u32 v28, vcc_lo, v1, 1
	v_add_co_ci_u32_e32 v29, vcc_lo, 0, v24, vcc_lo
	v_cmp_ne_u32_e32 vcc_lo, 0, v25
	s_delay_alu instid0(VALU_DEP_2) | instskip(NEXT) | instid1(VALU_DEP_4)
	v_cndmask_b32_e32 v9, v29, v27, vcc_lo
	v_cndmask_b32_e32 v25, v28, v26, vcc_lo
	v_cmp_ne_u32_e32 vcc_lo, 0, v8
	v_xor_b32_e32 v26, s14, v30
	s_delay_alu instid0(VALU_DEP_3) | instskip(SKIP_1) | instid1(VALU_DEP_2)
	v_cndmask_b32_e32 v1, v1, v25, vcc_lo
	v_cndmask_b32_e32 v8, v24, v9, vcc_lo
                                        ; implicit-def: $vgpr24
	v_xor_b32_e32 v1, v1, v26
	s_delay_alu instid0(VALU_DEP_2) | instskip(NEXT) | instid1(VALU_DEP_2)
	v_xor_b32_e32 v9, v8, v26
	v_sub_co_u32 v8, vcc_lo, v1, v26
	s_delay_alu instid0(VALU_DEP_2)
	v_sub_co_ci_u32_e32 v9, vcc_lo, v9, v26, vcc_lo
.LBB26_12:                              ;   in Loop: Header=BB26_10 Depth=2
	s_and_not1_saveexec_b32 s3, s21
; %bb.13:                               ;   in Loop: Header=BB26_10 Depth=2
	v_mul_hi_u32 v1, v24, v21
	s_delay_alu instid0(VALU_DEP_1) | instskip(NEXT) | instid1(VALU_DEP_1)
	v_mul_lo_u32 v8, v1, s10
	v_sub_nc_u32_e32 v8, v24, v8
	s_delay_alu instid0(VALU_DEP_1) | instskip(SKIP_1) | instid1(VALU_DEP_2)
	v_subrev_nc_u32_e32 v24, s10, v8
	v_cmp_le_u32_e32 vcc_lo, s10, v8
	v_dual_cndmask_b32 v8, v8, v24 :: v_dual_add_nc_u32 v9, 1, v1
	s_delay_alu instid0(VALU_DEP_1) | instskip(NEXT) | instid1(VALU_DEP_2)
	v_cndmask_b32_e32 v1, v1, v9, vcc_lo
	v_cmp_le_u32_e32 vcc_lo, s10, v8
	s_delay_alu instid0(VALU_DEP_2) | instskip(NEXT) | instid1(VALU_DEP_1)
	v_add_nc_u32_e32 v9, 1, v1
	v_dual_cndmask_b32 v8, v1, v9 :: v_dual_mov_b32 v9, v0
; %bb.14:                               ;   in Loop: Header=BB26_10 Depth=2
	s_or_b32 exec_lo, exec_lo, s3
	s_delay_alu instid0(VALU_DEP_1)
	v_cmp_eq_u64_e32 vcc_lo, v[8:9], v[3:4]
	s_mov_b32 s15, exec_lo
	v_cmpx_ne_u64_e64 v[8:9], v[3:4]
	s_xor_b32 s15, exec_lo, s15
; %bb.15:                               ;   in Loop: Header=BB26_10 Depth=2
	v_cmp_lt_i64_e64 s3, v[8:9], v[5:6]
                                        ; implicit-def: $vgpr23
	s_delay_alu instid0(VALU_DEP_1)
	v_cndmask_b32_e64 v6, v6, v9, s3
	v_cndmask_b32_e64 v5, v5, v8, s3
; %bb.16:                               ;   in Loop: Header=BB26_10 Depth=2
	s_or_saveexec_b32 s3, s15
	v_mov_b32_e32 v1, v7
	s_xor_b32 exec_lo, exec_lo, s3
	s_cbranch_execz .LBB26_9
; %bb.17:                               ;   in Loop: Header=BB26_10 Depth=2
	v_mov_b32_e32 v1, v23
	ds_store_b8 v10, v22 offset:64
	s_branch .LBB26_9
.LBB26_18:                              ;   in Loop: Header=BB26_7 Depth=1
	s_or_b32 exec_lo, exec_lo, s20
.LBB26_19:                              ;   in Loop: Header=BB26_7 Depth=1
	s_delay_alu instid0(SALU_CYCLE_1)
	s_or_b32 exec_lo, exec_lo, s19
	ds_bpermute_b32 v3, v16, v1
	s_waitcnt lgkmcnt(0)
	buffer_gl0_inv
	ds_load_u8 v4, v10 offset:64
	v_min_i32_e32 v1, v3, v1
	ds_bpermute_b32 v3, v17, v1
	s_waitcnt lgkmcnt(0)
	v_min_i32_e32 v1, v3, v1
	v_and_b32_e32 v3, 1, v4
	ds_bpermute_b32 v1, v15, v1
	v_cmp_eq_u32_e32 vcc_lo, 1, v3
	s_and_b32 s15, s2, vcc_lo
	s_delay_alu instid0(SALU_CYCLE_1)
	s_and_saveexec_b32 s3, s15
	s_cbranch_execz .LBB26_6
; %bb.20:                               ;   in Loop: Header=BB26_7 Depth=1
	ds_load_b64 v[3:4], v11
	s_waitcnt lgkmcnt(0)
	v_add_co_u32 v3, vcc_lo, v3, 1
	v_add_co_ci_u32_e32 v4, vcc_lo, 0, v4, vcc_lo
	ds_store_b64 v11, v[3:4]
	s_branch .LBB26_6
.LBB26_21:
	s_or_b32 exec_lo, exec_lo, s18
.LBB26_22:
	s_delay_alu instid0(SALU_CYCLE_1)
	s_mov_b32 s2, exec_lo
	v_cmpx_eq_u32_e32 0, v12
	s_cbranch_execz .LBB26_25
; %bb.23:
	s_clause 0x1
	s_load_b32 s2, s[0:1], 0x40
	s_load_b64 s[0:1], s[0:1], 0x48
	v_mov_b32_e32 v1, 0
	v_lshl_or_b32 v0, s8, 3, v10
	s_waitcnt lgkmcnt(0)
	v_mov_b32_e32 v2, s2
	s_delay_alu instid0(VALU_DEP_2)
	v_cmp_gt_i64_e32 vcc_lo, s[4:5], v[0:1]
	global_store_b32 v1, v2, s[0:1]
	s_and_b32 exec_lo, exec_lo, vcc_lo
	s_cbranch_execz .LBB26_25
; %bb.24:
	ds_load_b32 v2, v11
	v_add_nc_u32_e32 v0, 1, v0
	s_delay_alu instid0(VALU_DEP_1) | instskip(NEXT) | instid1(VALU_DEP_1)
	v_lshlrev_b64 v[0:1], 2, v[0:1]
	v_add_co_u32 v0, vcc_lo, s0, v0
	s_delay_alu instid0(VALU_DEP_2)
	v_add_co_ci_u32_e32 v1, vcc_lo, s1, v1, vcc_lo
	s_waitcnt lgkmcnt(0)
	global_store_b32 v[0:1], v2, off
.LBB26_25:
	s_nop 0
	s_sendmsg sendmsg(MSG_DEALLOC_VGPRS)
	s_endpgm
	.section	.rodata,"a",@progbits
	.p2align	6, 0x0
	.amdhsa_kernel _ZN9rocsparseL46csr2bsr_nnz_wavefront_per_row_multipass_kernelILj256ELj32ELj8EilEEvT3_S1_S1_S1_S1_21rocsparse_index_base_PKT2_PKS1_S2_PS3_
		.amdhsa_group_segment_fixed_size 72
		.amdhsa_private_segment_fixed_size 0
		.amdhsa_kernarg_size 80
		.amdhsa_user_sgpr_count 15
		.amdhsa_user_sgpr_dispatch_ptr 0
		.amdhsa_user_sgpr_queue_ptr 0
		.amdhsa_user_sgpr_kernarg_segment_ptr 1
		.amdhsa_user_sgpr_dispatch_id 0
		.amdhsa_user_sgpr_private_segment_size 0
		.amdhsa_wavefront_size32 1
		.amdhsa_uses_dynamic_stack 0
		.amdhsa_enable_private_segment 0
		.amdhsa_system_sgpr_workgroup_id_x 1
		.amdhsa_system_sgpr_workgroup_id_y 0
		.amdhsa_system_sgpr_workgroup_id_z 0
		.amdhsa_system_sgpr_workgroup_info 0
		.amdhsa_system_vgpr_workitem_id 0
		.amdhsa_next_free_vgpr 33
		.amdhsa_next_free_sgpr 22
		.amdhsa_reserve_vcc 1
		.amdhsa_float_round_mode_32 0
		.amdhsa_float_round_mode_16_64 0
		.amdhsa_float_denorm_mode_32 3
		.amdhsa_float_denorm_mode_16_64 3
		.amdhsa_dx10_clamp 1
		.amdhsa_ieee_mode 1
		.amdhsa_fp16_overflow 0
		.amdhsa_workgroup_processor_mode 1
		.amdhsa_memory_ordered 1
		.amdhsa_forward_progress 0
		.amdhsa_shared_vgpr_count 0
		.amdhsa_exception_fp_ieee_invalid_op 0
		.amdhsa_exception_fp_denorm_src 0
		.amdhsa_exception_fp_ieee_div_zero 0
		.amdhsa_exception_fp_ieee_overflow 0
		.amdhsa_exception_fp_ieee_underflow 0
		.amdhsa_exception_fp_ieee_inexact 0
		.amdhsa_exception_int_div_zero 0
	.end_amdhsa_kernel
	.section	.text._ZN9rocsparseL46csr2bsr_nnz_wavefront_per_row_multipass_kernelILj256ELj32ELj8EilEEvT3_S1_S1_S1_S1_21rocsparse_index_base_PKT2_PKS1_S2_PS3_,"axG",@progbits,_ZN9rocsparseL46csr2bsr_nnz_wavefront_per_row_multipass_kernelILj256ELj32ELj8EilEEvT3_S1_S1_S1_S1_21rocsparse_index_base_PKT2_PKS1_S2_PS3_,comdat
.Lfunc_end26:
	.size	_ZN9rocsparseL46csr2bsr_nnz_wavefront_per_row_multipass_kernelILj256ELj32ELj8EilEEvT3_S1_S1_S1_S1_21rocsparse_index_base_PKT2_PKS1_S2_PS3_, .Lfunc_end26-_ZN9rocsparseL46csr2bsr_nnz_wavefront_per_row_multipass_kernelILj256ELj32ELj8EilEEvT3_S1_S1_S1_S1_21rocsparse_index_base_PKT2_PKS1_S2_PS3_
                                        ; -- End function
	.section	.AMDGPU.csdata,"",@progbits
; Kernel info:
; codeLenInByte = 2184
; NumSgprs: 24
; NumVgprs: 33
; ScratchSize: 0
; MemoryBound: 0
; FloatMode: 240
; IeeeMode: 1
; LDSByteSize: 72 bytes/workgroup (compile time only)
; SGPRBlocks: 2
; VGPRBlocks: 4
; NumSGPRsForWavesPerEU: 24
; NumVGPRsForWavesPerEU: 33
; Occupancy: 16
; WaveLimiterHint : 0
; COMPUTE_PGM_RSRC2:SCRATCH_EN: 0
; COMPUTE_PGM_RSRC2:USER_SGPR: 15
; COMPUTE_PGM_RSRC2:TRAP_HANDLER: 0
; COMPUTE_PGM_RSRC2:TGID_X_EN: 1
; COMPUTE_PGM_RSRC2:TGID_Y_EN: 0
; COMPUTE_PGM_RSRC2:TGID_Z_EN: 0
; COMPUTE_PGM_RSRC2:TIDIG_COMP_CNT: 0
	.section	.text._ZN9rocsparseL46csr2bsr_nnz_wavefront_per_row_multipass_kernelILj256ELj64ELj16EilEEvT3_S1_S1_S1_S1_21rocsparse_index_base_PKT2_PKS1_S2_PS3_,"axG",@progbits,_ZN9rocsparseL46csr2bsr_nnz_wavefront_per_row_multipass_kernelILj256ELj64ELj16EilEEvT3_S1_S1_S1_S1_21rocsparse_index_base_PKT2_PKS1_S2_PS3_,comdat
	.globl	_ZN9rocsparseL46csr2bsr_nnz_wavefront_per_row_multipass_kernelILj256ELj64ELj16EilEEvT3_S1_S1_S1_S1_21rocsparse_index_base_PKT2_PKS1_S2_PS3_ ; -- Begin function _ZN9rocsparseL46csr2bsr_nnz_wavefront_per_row_multipass_kernelILj256ELj64ELj16EilEEvT3_S1_S1_S1_S1_21rocsparse_index_base_PKT2_PKS1_S2_PS3_
	.p2align	8
	.type	_ZN9rocsparseL46csr2bsr_nnz_wavefront_per_row_multipass_kernelILj256ELj64ELj16EilEEvT3_S1_S1_S1_S1_21rocsparse_index_base_PKT2_PKS1_S2_PS3_,@function
_ZN9rocsparseL46csr2bsr_nnz_wavefront_per_row_multipass_kernelILj256ELj64ELj16EilEEvT3_S1_S1_S1_S1_21rocsparse_index_base_PKT2_PKS1_S2_PS3_: ; @_ZN9rocsparseL46csr2bsr_nnz_wavefront_per_row_multipass_kernelILj256ELj64ELj16EilEEvT3_S1_S1_S1_S1_21rocsparse_index_base_PKT2_PKS1_S2_PS3_
; %bb.0:
	s_load_b64 s[10:11], s[0:1], 0x20
	v_lshrrev_b32_e32 v10, 6, v0
	s_mov_b32 s8, s15
	s_ashr_i32 s9, s15, 31
	s_clause 0x1
	s_load_b64 s[14:15], s[0:1], 0x0
	s_load_b128 s[4:7], s[0:1], 0x10
	s_lshl_b64 s[2:3], s[8:9], 2
	v_dual_mov_b32 v2, 0 :: v_dual_lshlrev_b32 v11, 3, v10
	v_or_b32_e32 v5, s2, v10
	v_bfe_u32 v1, v0, 2, 4
	s_clause 0x1
	s_load_b32 s9, s[0:1], 0x28
	s_load_b64 s[12:13], s[0:1], 0x30
	s_waitcnt lgkmcnt(0)
	v_mul_lo_u32 v6, v5, s11
	v_mad_u64_u32 v[3:4], null, v5, s10, v[1:2]
	s_mul_i32 s2, s3, s10
	v_mov_b32_e32 v5, v2
	s_delay_alu instid0(VALU_DEP_2) | instskip(SKIP_2) | instid1(VALU_DEP_3)
	v_add3_u32 v4, s2, v4, v6
	v_cmp_gt_i64_e64 s2, s[10:11], v[1:2]
	v_dual_mov_b32 v6, v2 :: v_dual_mov_b32 v1, 0
	v_cmp_gt_i64_e32 vcc_lo, s[14:15], v[3:4]
	ds_store_b64 v11, v[5:6]
	s_waitcnt lgkmcnt(0)
	s_barrier
	buffer_gl0_inv
	s_and_b32 s2, s2, vcc_lo
	s_delay_alu instid0(SALU_CYCLE_1)
	s_and_saveexec_b32 s3, s2
	s_cbranch_execz .LBB27_2
; %bb.1:
	v_lshlrev_b64 v[5:6], 2, v[3:4]
	s_delay_alu instid0(VALU_DEP_1) | instskip(NEXT) | instid1(VALU_DEP_2)
	v_add_co_u32 v5, vcc_lo, s12, v5
	v_add_co_ci_u32_e32 v6, vcc_lo, s13, v6, vcc_lo
	global_load_b32 v1, v[5:6], off
	s_waitcnt vmcnt(0)
	v_subrev_nc_u32_e32 v1, s9, v1
.LBB27_2:
	s_or_b32 exec_lo, exec_lo, s3
	s_and_saveexec_b32 s3, s2
	s_cbranch_execz .LBB27_4
; %bb.3:
	v_lshlrev_b64 v[2:3], 2, v[3:4]
	s_delay_alu instid0(VALU_DEP_1) | instskip(NEXT) | instid1(VALU_DEP_2)
	v_add_co_u32 v2, vcc_lo, s12, v2
	v_add_co_ci_u32_e32 v3, vcc_lo, s13, v3, vcc_lo
	global_load_b32 v2, v[2:3], off offset:4
	s_waitcnt vmcnt(0)
	v_subrev_nc_u32_e32 v2, s9, v2
.LBB27_4:
	s_or_b32 exec_lo, exec_lo, s3
	v_cmp_lt_i64_e64 s2, s[6:7], 1
	v_and_b32_e32 v12, 63, v0
	s_delay_alu instid0(VALU_DEP_2) | instskip(NEXT) | instid1(VALU_DEP_1)
	s_and_b32 vcc_lo, exec_lo, s2
	v_cmp_eq_u32_e64 s2, 0, v12
	s_cbranch_vccnz .LBB27_22
; %bb.5:
	v_mbcnt_lo_u32_b32 v6, -1, 0
	v_cvt_f32_u32_e32 v3, s10
	s_sub_i32 s3, 0, s10
	s_load_b64 s[12:13], s[0:1], 0x38
	v_and_b32_e32 v13, 3, v0
	v_xor_b32_e32 v7, 2, v6
	v_rcp_iflag_f32_e32 v5, v3
	v_xor_b32_e32 v8, 1, v6
	v_or_b32_e32 v9, 32, v6
	v_xor_b32_e32 v16, 16, v6
	v_cmp_gt_i32_e32 vcc_lo, 32, v7
	v_xor_b32_e32 v17, 8, v6
	v_xor_b32_e32 v18, 4, v6
	v_lshl_or_b32 v15, v6, 2, 12
	v_dual_mov_b32 v3, 0 :: v_dual_mov_b32 v0, 0
	v_cndmask_b32_e32 v7, v6, v7, vcc_lo
	v_cmp_gt_i32_e32 vcc_lo, 32, v8
	v_mul_f32_e32 v5, 0x4f7ffffe, v5
	v_bfrev_b32_e32 v14, 0.5
	v_mov_b32_e32 v4, 0
	s_mov_b32 s18, 0
	v_cndmask_b32_e32 v8, v6, v8, vcc_lo
	v_cmp_gt_i32_e32 vcc_lo, 32, v9
	v_cvt_u32_f32_e32 v5, v5
	s_ashr_i32 s14, s11, 31
	v_mov_b32_e32 v23, 1
	v_cndmask_b32_e32 v9, v6, v9, vcc_lo
	v_cmp_gt_i32_e32 vcc_lo, 32, v16
	v_mul_lo_u32 v19, s3, v5
	v_cndmask_b32_e32 v20, v6, v16, vcc_lo
	v_cmp_gt_i32_e32 vcc_lo, 32, v17
	s_delay_alu instid0(VALU_DEP_3) | instskip(NEXT) | instid1(VALU_DEP_3)
	v_mul_hi_u32 v22, v5, v19
	v_lshlrev_b32_e32 v19, 2, v20
	v_cndmask_b32_e32 v21, v6, v17, vcc_lo
	v_cmp_gt_i32_e32 vcc_lo, 32, v18
	v_lshlrev_b32_e32 v17, 2, v8
	v_add_nc_u32_e32 v22, v5, v22
	v_cndmask_b32_e32 v6, v6, v18, vcc_lo
	v_lshlrev_b32_e32 v18, 2, v9
	v_lshlrev_b32_e32 v16, 2, v7
	;; [unrolled: 1-line block ×3, first 2 shown]
	s_delay_alu instid0(VALU_DEP_4)
	v_lshlrev_b32_e32 v21, 2, v6
	s_branch .LBB27_7
.LBB27_6:                               ;   in Loop: Header=BB27_7 Depth=1
	s_or_b32 exec_lo, exec_lo, s3
	ds_bpermute_b32 v3, v18, v5
	ds_bpermute_b32 v4, v18, v6
	s_waitcnt lgkmcnt(0)
	buffer_gl0_inv
	v_cmp_lt_i64_e32 vcc_lo, v[3:4], v[5:6]
	v_dual_cndmask_b32 v4, v6, v4 :: v_dual_cndmask_b32 v3, v5, v3
	ds_bpermute_b32 v6, v19, v4
	ds_bpermute_b32 v5, v19, v3
	s_waitcnt lgkmcnt(0)
	v_cmp_lt_i64_e32 vcc_lo, v[5:6], v[3:4]
	v_dual_cndmask_b32 v4, v4, v6 :: v_dual_cndmask_b32 v3, v3, v5
	ds_bpermute_b32 v6, v20, v4
	ds_bpermute_b32 v5, v20, v3
	s_waitcnt lgkmcnt(0)
	;; [unrolled: 5-line block ×5, first 2 shown]
	v_cmp_lt_i64_e32 vcc_lo, v[5:6], v[3:4]
	v_cndmask_b32_e32 v3, v3, v5, vcc_lo
	ds_bpermute_b32 v3, v14, v3
	s_waitcnt lgkmcnt(0)
	v_ashrrev_i32_e32 v4, 31, v3
	s_delay_alu instid0(VALU_DEP_1) | instskip(SKIP_1) | instid1(SALU_CYCLE_1)
	v_cmp_le_i64_e32 vcc_lo, s[6:7], v[3:4]
	s_or_b32 s18, vcc_lo, s18
	s_and_not1_b32 exec_lo, exec_lo, s18
	s_cbranch_execz .LBB27_21
.LBB27_7:                               ; =>This Loop Header: Depth=1
                                        ;     Child Loop BB27_10 Depth 2
	v_mov_b32_e32 v5, s6
	v_dual_mov_b32 v6, s7 :: v_dual_add_nc_u32 v7, v1, v13
	v_mov_b32_e32 v1, v2
	s_mov_b32 s19, exec_lo
	ds_store_b8 v10, v0 offset:32
	s_waitcnt lgkmcnt(0)
	buffer_gl0_inv
	v_cmpx_lt_i32_e64 v7, v2
	s_cbranch_execz .LBB27_19
; %bb.8:                                ;   in Loop: Header=BB27_7 Depth=1
	v_dual_mov_b32 v5, s6 :: v_dual_mov_b32 v6, s7
	v_mov_b32_e32 v24, v2
	s_mov_b32 s20, 0
	s_branch .LBB27_10
.LBB27_9:                               ;   in Loop: Header=BB27_10 Depth=2
	s_or_b32 exec_lo, exec_lo, s3
	s_delay_alu instid0(VALU_DEP_1) | instskip(SKIP_1) | instid1(VALU_DEP_1)
	v_dual_mov_b32 v24, v1 :: v_dual_add_nc_u32 v7, 4, v7
	s_xor_b32 s15, vcc_lo, -1
	v_cmp_ge_i32_e64 s3, v7, v2
	s_delay_alu instid0(VALU_DEP_1) | instskip(NEXT) | instid1(SALU_CYCLE_1)
	s_or_b32 s3, s15, s3
	s_and_b32 s3, exec_lo, s3
	s_delay_alu instid0(SALU_CYCLE_1) | instskip(NEXT) | instid1(SALU_CYCLE_1)
	s_or_b32 s20, s3, s20
	s_and_not1_b32 exec_lo, exec_lo, s20
	s_cbranch_execz .LBB27_18
.LBB27_10:                              ;   Parent Loop BB27_7 Depth=1
                                        ; =>  This Inner Loop Header: Depth=2
	v_ashrrev_i32_e32 v8, 31, v7
	s_mov_b32 s3, exec_lo
	s_delay_alu instid0(VALU_DEP_1) | instskip(NEXT) | instid1(VALU_DEP_1)
	v_lshlrev_b64 v[8:9], 3, v[7:8]
	v_add_co_u32 v8, vcc_lo, s12, v8
	s_delay_alu instid0(VALU_DEP_2) | instskip(SKIP_4) | instid1(VALU_DEP_1)
	v_add_co_ci_u32_e32 v9, vcc_lo, s13, v9, vcc_lo
	global_load_b64 v[8:9], v[8:9], off
	s_waitcnt vmcnt(0)
	v_sub_co_u32 v25, vcc_lo, v8, s9
	v_subrev_co_ci_u32_e32 v26, vcc_lo, 0, v9, vcc_lo
                                        ; implicit-def: $vgpr8_vgpr9
	v_or_b32_e32 v1, s11, v26
	s_delay_alu instid0(VALU_DEP_1)
	v_cmpx_ne_u64_e32 0, v[0:1]
	s_xor_b32 s21, exec_lo, s3
	s_cbranch_execz .LBB27_12
; %bb.11:                               ;   in Loop: Header=BB27_10 Depth=2
	s_add_u32 s16, s10, s14
	s_mov_b32 s15, s14
	s_addc_u32 s17, s11, s14
	s_delay_alu instid0(SALU_CYCLE_1) | instskip(NEXT) | instid1(SALU_CYCLE_1)
	s_xor_b64 s[16:17], s[16:17], s[14:15]
	v_cvt_f32_u32_e32 v1, s16
	v_cvt_f32_u32_e32 v8, s17
	s_sub_u32 s3, 0, s16
	s_subb_u32 s15, 0, s17
	s_delay_alu instid0(VALU_DEP_1) | instskip(NEXT) | instid1(VALU_DEP_1)
	v_fmac_f32_e32 v1, 0x4f800000, v8
	v_rcp_f32_e32 v1, v1
	s_waitcnt_depctr 0xfff
	v_mul_f32_e32 v1, 0x5f7ffffc, v1
	s_delay_alu instid0(VALU_DEP_1) | instskip(NEXT) | instid1(VALU_DEP_1)
	v_mul_f32_e32 v8, 0x2f800000, v1
	v_trunc_f32_e32 v8, v8
	s_delay_alu instid0(VALU_DEP_1) | instskip(SKIP_1) | instid1(VALU_DEP_2)
	v_fmac_f32_e32 v1, 0xcf800000, v8
	v_cvt_u32_f32_e32 v8, v8
	v_cvt_u32_f32_e32 v1, v1
	s_delay_alu instid0(VALU_DEP_2) | instskip(NEXT) | instid1(VALU_DEP_2)
	v_mul_lo_u32 v9, s3, v8
	v_mul_hi_u32 v27, s3, v1
	v_mul_lo_u32 v28, s15, v1
	s_delay_alu instid0(VALU_DEP_2) | instskip(SKIP_1) | instid1(VALU_DEP_2)
	v_add_nc_u32_e32 v9, v27, v9
	v_mul_lo_u32 v27, s3, v1
	v_add_nc_u32_e32 v9, v9, v28
	s_delay_alu instid0(VALU_DEP_2) | instskip(NEXT) | instid1(VALU_DEP_2)
	v_mul_hi_u32 v28, v1, v27
	v_mul_lo_u32 v29, v1, v9
	v_mul_hi_u32 v30, v1, v9
	v_mul_hi_u32 v31, v8, v27
	v_mul_lo_u32 v27, v8, v27
	v_mul_hi_u32 v32, v8, v9
	v_mul_lo_u32 v9, v8, v9
	v_add_co_u32 v28, vcc_lo, v28, v29
	v_add_co_ci_u32_e32 v29, vcc_lo, 0, v30, vcc_lo
	s_delay_alu instid0(VALU_DEP_2) | instskip(NEXT) | instid1(VALU_DEP_2)
	v_add_co_u32 v27, vcc_lo, v28, v27
	v_add_co_ci_u32_e32 v27, vcc_lo, v29, v31, vcc_lo
	v_add_co_ci_u32_e32 v28, vcc_lo, 0, v32, vcc_lo
	v_ashrrev_i32_e32 v31, 31, v26
	s_delay_alu instid0(VALU_DEP_3) | instskip(NEXT) | instid1(VALU_DEP_3)
	v_add_co_u32 v9, vcc_lo, v27, v9
	v_add_co_ci_u32_e32 v27, vcc_lo, 0, v28, vcc_lo
	s_delay_alu instid0(VALU_DEP_2) | instskip(NEXT) | instid1(VALU_DEP_2)
	v_add_co_u32 v1, vcc_lo, v1, v9
	v_add_co_ci_u32_e32 v8, vcc_lo, v8, v27, vcc_lo
	s_delay_alu instid0(VALU_DEP_2) | instskip(SKIP_1) | instid1(VALU_DEP_3)
	v_mul_hi_u32 v9, s3, v1
	v_mul_lo_u32 v28, s15, v1
	v_mul_lo_u32 v27, s3, v8
	s_delay_alu instid0(VALU_DEP_1) | instskip(SKIP_1) | instid1(VALU_DEP_2)
	v_add_nc_u32_e32 v9, v9, v27
	v_mul_lo_u32 v27, s3, v1
	v_add_nc_u32_e32 v9, v9, v28
	s_delay_alu instid0(VALU_DEP_2) | instskip(NEXT) | instid1(VALU_DEP_2)
	v_mul_hi_u32 v28, v1, v27
	v_mul_lo_u32 v29, v1, v9
	v_mul_hi_u32 v30, v1, v9
	v_mul_hi_u32 v32, v8, v27
	v_mul_lo_u32 v27, v8, v27
	v_mul_hi_u32 v33, v8, v9
	v_mul_lo_u32 v9, v8, v9
	v_add_co_u32 v28, vcc_lo, v28, v29
	v_add_co_ci_u32_e32 v29, vcc_lo, 0, v30, vcc_lo
	s_delay_alu instid0(VALU_DEP_2) | instskip(NEXT) | instid1(VALU_DEP_2)
	v_add_co_u32 v27, vcc_lo, v28, v27
	v_add_co_ci_u32_e32 v27, vcc_lo, v29, v32, vcc_lo
	v_add_co_ci_u32_e32 v28, vcc_lo, 0, v33, vcc_lo
	v_add_co_u32 v25, vcc_lo, v25, v31
	v_add_co_ci_u32_e32 v26, vcc_lo, v26, v31, vcc_lo
	s_delay_alu instid0(VALU_DEP_4) | instskip(NEXT) | instid1(VALU_DEP_4)
	v_add_co_u32 v9, vcc_lo, v27, v9
	v_add_co_ci_u32_e32 v27, vcc_lo, 0, v28, vcc_lo
	s_delay_alu instid0(VALU_DEP_4) | instskip(NEXT) | instid1(VALU_DEP_3)
	v_xor_b32_e32 v29, v25, v31
	v_add_co_u32 v1, vcc_lo, v1, v9
	s_delay_alu instid0(VALU_DEP_3) | instskip(SKIP_1) | instid1(VALU_DEP_3)
	v_add_co_ci_u32_e32 v30, vcc_lo, v8, v27, vcc_lo
	v_xor_b32_e32 v32, v26, v31
	v_mul_hi_u32 v33, v29, v1
	s_delay_alu instid0(VALU_DEP_3) | instskip(NEXT) | instid1(VALU_DEP_3)
	v_mad_u64_u32 v[8:9], null, v29, v30, 0
	v_mad_u64_u32 v[25:26], null, v32, v1, 0
	;; [unrolled: 1-line block ×3, first 2 shown]
	s_delay_alu instid0(VALU_DEP_3) | instskip(NEXT) | instid1(VALU_DEP_4)
	v_add_co_u32 v1, vcc_lo, v33, v8
	v_add_co_ci_u32_e32 v8, vcc_lo, 0, v9, vcc_lo
	s_delay_alu instid0(VALU_DEP_2) | instskip(NEXT) | instid1(VALU_DEP_2)
	v_add_co_u32 v1, vcc_lo, v1, v25
	v_add_co_ci_u32_e32 v1, vcc_lo, v8, v26, vcc_lo
	v_add_co_ci_u32_e32 v8, vcc_lo, 0, v28, vcc_lo
	s_delay_alu instid0(VALU_DEP_2) | instskip(NEXT) | instid1(VALU_DEP_2)
	v_add_co_u32 v1, vcc_lo, v1, v27
	v_add_co_ci_u32_e32 v25, vcc_lo, 0, v8, vcc_lo
	s_delay_alu instid0(VALU_DEP_2) | instskip(SKIP_1) | instid1(VALU_DEP_3)
	v_mul_lo_u32 v26, s17, v1
	v_mad_u64_u32 v[8:9], null, s16, v1, 0
	v_mul_lo_u32 v27, s16, v25
	s_delay_alu instid0(VALU_DEP_2) | instskip(NEXT) | instid1(VALU_DEP_2)
	v_sub_co_u32 v8, vcc_lo, v29, v8
	v_add3_u32 v9, v9, v27, v26
	s_delay_alu instid0(VALU_DEP_1) | instskip(NEXT) | instid1(VALU_DEP_1)
	v_sub_nc_u32_e32 v26, v32, v9
	v_subrev_co_ci_u32_e64 v26, s3, s17, v26, vcc_lo
	v_add_co_u32 v27, s3, v1, 2
	s_delay_alu instid0(VALU_DEP_1) | instskip(SKIP_3) | instid1(VALU_DEP_3)
	v_add_co_ci_u32_e64 v28, s3, 0, v25, s3
	v_sub_co_u32 v29, s3, v8, s16
	v_sub_co_ci_u32_e32 v9, vcc_lo, v32, v9, vcc_lo
	v_subrev_co_ci_u32_e64 v26, s3, 0, v26, s3
	v_cmp_le_u32_e32 vcc_lo, s16, v29
	s_delay_alu instid0(VALU_DEP_3) | instskip(SKIP_1) | instid1(VALU_DEP_4)
	v_cmp_eq_u32_e64 s3, s17, v9
	v_cndmask_b32_e64 v29, 0, -1, vcc_lo
	v_cmp_le_u32_e32 vcc_lo, s17, v26
	v_cndmask_b32_e64 v30, 0, -1, vcc_lo
	v_cmp_le_u32_e32 vcc_lo, s16, v8
	;; [unrolled: 2-line block ×3, first 2 shown]
	v_cndmask_b32_e64 v32, 0, -1, vcc_lo
	v_cmp_eq_u32_e32 vcc_lo, s17, v26
	s_delay_alu instid0(VALU_DEP_2) | instskip(SKIP_3) | instid1(VALU_DEP_3)
	v_cndmask_b32_e64 v8, v32, v8, s3
	v_cndmask_b32_e32 v26, v30, v29, vcc_lo
	v_add_co_u32 v29, vcc_lo, v1, 1
	v_add_co_ci_u32_e32 v30, vcc_lo, 0, v25, vcc_lo
	v_cmp_ne_u32_e32 vcc_lo, 0, v26
	s_delay_alu instid0(VALU_DEP_2) | instskip(SKIP_2) | instid1(VALU_DEP_3)
	v_dual_cndmask_b32 v9, v30, v28 :: v_dual_cndmask_b32 v26, v29, v27
	v_cmp_ne_u32_e32 vcc_lo, 0, v8
	v_xor_b32_e32 v27, s14, v31
	v_cndmask_b32_e32 v8, v25, v9, vcc_lo
	s_delay_alu instid0(VALU_DEP_4) | instskip(NEXT) | instid1(VALU_DEP_2)
	v_cndmask_b32_e32 v1, v1, v26, vcc_lo
                                        ; implicit-def: $vgpr25
	v_xor_b32_e32 v9, v8, v27
	s_delay_alu instid0(VALU_DEP_2) | instskip(NEXT) | instid1(VALU_DEP_1)
	v_xor_b32_e32 v1, v1, v27
	v_sub_co_u32 v8, vcc_lo, v1, v27
	s_delay_alu instid0(VALU_DEP_3)
	v_sub_co_ci_u32_e32 v9, vcc_lo, v9, v27, vcc_lo
.LBB27_12:                              ;   in Loop: Header=BB27_10 Depth=2
	s_and_not1_saveexec_b32 s3, s21
; %bb.13:                               ;   in Loop: Header=BB27_10 Depth=2
	v_mul_hi_u32 v1, v25, v22
	s_delay_alu instid0(VALU_DEP_1) | instskip(SKIP_1) | instid1(VALU_DEP_2)
	v_mul_lo_u32 v8, v1, s10
	v_add_nc_u32_e32 v9, 1, v1
	v_sub_nc_u32_e32 v8, v25, v8
	s_delay_alu instid0(VALU_DEP_1) | instskip(SKIP_1) | instid1(VALU_DEP_2)
	v_subrev_nc_u32_e32 v25, s10, v8
	v_cmp_le_u32_e32 vcc_lo, s10, v8
	v_cndmask_b32_e32 v8, v8, v25, vcc_lo
	v_cndmask_b32_e32 v1, v1, v9, vcc_lo
	s_delay_alu instid0(VALU_DEP_2) | instskip(NEXT) | instid1(VALU_DEP_2)
	v_cmp_le_u32_e32 vcc_lo, s10, v8
	v_add_nc_u32_e32 v9, 1, v1
	s_delay_alu instid0(VALU_DEP_1)
	v_dual_cndmask_b32 v8, v1, v9 :: v_dual_mov_b32 v9, v0
; %bb.14:                               ;   in Loop: Header=BB27_10 Depth=2
	s_or_b32 exec_lo, exec_lo, s3
	s_delay_alu instid0(VALU_DEP_1)
	v_cmp_eq_u64_e32 vcc_lo, v[8:9], v[3:4]
	s_mov_b32 s15, exec_lo
	v_cmpx_ne_u64_e64 v[8:9], v[3:4]
	s_xor_b32 s15, exec_lo, s15
; %bb.15:                               ;   in Loop: Header=BB27_10 Depth=2
	v_cmp_lt_i64_e64 s3, v[8:9], v[5:6]
                                        ; implicit-def: $vgpr24
	s_delay_alu instid0(VALU_DEP_1)
	v_cndmask_b32_e64 v6, v6, v9, s3
	v_cndmask_b32_e64 v5, v5, v8, s3
; %bb.16:                               ;   in Loop: Header=BB27_10 Depth=2
	s_or_saveexec_b32 s3, s15
	v_mov_b32_e32 v1, v7
	s_xor_b32 exec_lo, exec_lo, s3
	s_cbranch_execz .LBB27_9
; %bb.17:                               ;   in Loop: Header=BB27_10 Depth=2
	v_mov_b32_e32 v1, v24
	ds_store_b8 v10, v23 offset:32
	s_branch .LBB27_9
.LBB27_18:                              ;   in Loop: Header=BB27_7 Depth=1
	s_or_b32 exec_lo, exec_lo, s20
.LBB27_19:                              ;   in Loop: Header=BB27_7 Depth=1
	s_delay_alu instid0(SALU_CYCLE_1)
	s_or_b32 exec_lo, exec_lo, s19
	ds_bpermute_b32 v3, v16, v1
	s_waitcnt lgkmcnt(0)
	buffer_gl0_inv
	ds_load_u8 v4, v10 offset:32
	v_min_i32_e32 v1, v3, v1
	ds_bpermute_b32 v3, v17, v1
	s_waitcnt lgkmcnt(0)
	v_min_i32_e32 v1, v3, v1
	v_and_b32_e32 v3, 1, v4
	ds_bpermute_b32 v1, v15, v1
	v_cmp_eq_u32_e32 vcc_lo, 1, v3
	s_and_b32 s15, s2, vcc_lo
	s_delay_alu instid0(SALU_CYCLE_1)
	s_and_saveexec_b32 s3, s15
	s_cbranch_execz .LBB27_6
; %bb.20:                               ;   in Loop: Header=BB27_7 Depth=1
	ds_load_b64 v[3:4], v11
	s_waitcnt lgkmcnt(0)
	v_add_co_u32 v3, vcc_lo, v3, 1
	v_add_co_ci_u32_e32 v4, vcc_lo, 0, v4, vcc_lo
	ds_store_b64 v11, v[3:4]
	s_branch .LBB27_6
.LBB27_21:
	s_or_b32 exec_lo, exec_lo, s18
.LBB27_22:
	s_delay_alu instid0(SALU_CYCLE_1)
	s_mov_b32 s2, exec_lo
	v_cmpx_eq_u32_e32 0, v12
	s_cbranch_execz .LBB27_25
; %bb.23:
	s_clause 0x1
	s_load_b32 s2, s[0:1], 0x40
	s_load_b64 s[0:1], s[0:1], 0x48
	v_mov_b32_e32 v1, 0
	v_lshl_or_b32 v0, s8, 2, v10
	s_waitcnt lgkmcnt(0)
	v_mov_b32_e32 v2, s2
	s_delay_alu instid0(VALU_DEP_2)
	v_cmp_gt_i64_e32 vcc_lo, s[4:5], v[0:1]
	global_store_b32 v1, v2, s[0:1]
	s_and_b32 exec_lo, exec_lo, vcc_lo
	s_cbranch_execz .LBB27_25
; %bb.24:
	ds_load_b32 v2, v11
	v_add_nc_u32_e32 v0, 1, v0
	s_delay_alu instid0(VALU_DEP_1) | instskip(NEXT) | instid1(VALU_DEP_1)
	v_lshlrev_b64 v[0:1], 2, v[0:1]
	v_add_co_u32 v0, vcc_lo, s0, v0
	s_delay_alu instid0(VALU_DEP_2)
	v_add_co_ci_u32_e32 v1, vcc_lo, s1, v1, vcc_lo
	s_waitcnt lgkmcnt(0)
	global_store_b32 v[0:1], v2, off
.LBB27_25:
	s_nop 0
	s_sendmsg sendmsg(MSG_DEALLOC_VGPRS)
	s_endpgm
	.section	.rodata,"a",@progbits
	.p2align	6, 0x0
	.amdhsa_kernel _ZN9rocsparseL46csr2bsr_nnz_wavefront_per_row_multipass_kernelILj256ELj64ELj16EilEEvT3_S1_S1_S1_S1_21rocsparse_index_base_PKT2_PKS1_S2_PS3_
		.amdhsa_group_segment_fixed_size 40
		.amdhsa_private_segment_fixed_size 0
		.amdhsa_kernarg_size 80
		.amdhsa_user_sgpr_count 15
		.amdhsa_user_sgpr_dispatch_ptr 0
		.amdhsa_user_sgpr_queue_ptr 0
		.amdhsa_user_sgpr_kernarg_segment_ptr 1
		.amdhsa_user_sgpr_dispatch_id 0
		.amdhsa_user_sgpr_private_segment_size 0
		.amdhsa_wavefront_size32 1
		.amdhsa_uses_dynamic_stack 0
		.amdhsa_enable_private_segment 0
		.amdhsa_system_sgpr_workgroup_id_x 1
		.amdhsa_system_sgpr_workgroup_id_y 0
		.amdhsa_system_sgpr_workgroup_id_z 0
		.amdhsa_system_sgpr_workgroup_info 0
		.amdhsa_system_vgpr_workitem_id 0
		.amdhsa_next_free_vgpr 34
		.amdhsa_next_free_sgpr 22
		.amdhsa_reserve_vcc 1
		.amdhsa_float_round_mode_32 0
		.amdhsa_float_round_mode_16_64 0
		.amdhsa_float_denorm_mode_32 3
		.amdhsa_float_denorm_mode_16_64 3
		.amdhsa_dx10_clamp 1
		.amdhsa_ieee_mode 1
		.amdhsa_fp16_overflow 0
		.amdhsa_workgroup_processor_mode 1
		.amdhsa_memory_ordered 1
		.amdhsa_forward_progress 0
		.amdhsa_shared_vgpr_count 0
		.amdhsa_exception_fp_ieee_invalid_op 0
		.amdhsa_exception_fp_denorm_src 0
		.amdhsa_exception_fp_ieee_div_zero 0
		.amdhsa_exception_fp_ieee_overflow 0
		.amdhsa_exception_fp_ieee_underflow 0
		.amdhsa_exception_fp_ieee_inexact 0
		.amdhsa_exception_int_div_zero 0
	.end_amdhsa_kernel
	.section	.text._ZN9rocsparseL46csr2bsr_nnz_wavefront_per_row_multipass_kernelILj256ELj64ELj16EilEEvT3_S1_S1_S1_S1_21rocsparse_index_base_PKT2_PKS1_S2_PS3_,"axG",@progbits,_ZN9rocsparseL46csr2bsr_nnz_wavefront_per_row_multipass_kernelILj256ELj64ELj16EilEEvT3_S1_S1_S1_S1_21rocsparse_index_base_PKT2_PKS1_S2_PS3_,comdat
.Lfunc_end27:
	.size	_ZN9rocsparseL46csr2bsr_nnz_wavefront_per_row_multipass_kernelILj256ELj64ELj16EilEEvT3_S1_S1_S1_S1_21rocsparse_index_base_PKT2_PKS1_S2_PS3_, .Lfunc_end27-_ZN9rocsparseL46csr2bsr_nnz_wavefront_per_row_multipass_kernelILj256ELj64ELj16EilEEvT3_S1_S1_S1_S1_21rocsparse_index_base_PKT2_PKS1_S2_PS3_
                                        ; -- End function
	.section	.AMDGPU.csdata,"",@progbits
; Kernel info:
; codeLenInByte = 2224
; NumSgprs: 24
; NumVgprs: 34
; ScratchSize: 0
; MemoryBound: 0
; FloatMode: 240
; IeeeMode: 1
; LDSByteSize: 40 bytes/workgroup (compile time only)
; SGPRBlocks: 2
; VGPRBlocks: 4
; NumSGPRsForWavesPerEU: 24
; NumVGPRsForWavesPerEU: 34
; Occupancy: 16
; WaveLimiterHint : 0
; COMPUTE_PGM_RSRC2:SCRATCH_EN: 0
; COMPUTE_PGM_RSRC2:USER_SGPR: 15
; COMPUTE_PGM_RSRC2:TRAP_HANDLER: 0
; COMPUTE_PGM_RSRC2:TGID_X_EN: 1
; COMPUTE_PGM_RSRC2:TGID_Y_EN: 0
; COMPUTE_PGM_RSRC2:TGID_Z_EN: 0
; COMPUTE_PGM_RSRC2:TIDIG_COMP_CNT: 0
	.section	.text._ZN9rocsparseL46csr2bsr_nnz_wavefront_per_row_multipass_kernelILj256ELj32ELj16EilEEvT3_S1_S1_S1_S1_21rocsparse_index_base_PKT2_PKS1_S2_PS3_,"axG",@progbits,_ZN9rocsparseL46csr2bsr_nnz_wavefront_per_row_multipass_kernelILj256ELj32ELj16EilEEvT3_S1_S1_S1_S1_21rocsparse_index_base_PKT2_PKS1_S2_PS3_,comdat
	.globl	_ZN9rocsparseL46csr2bsr_nnz_wavefront_per_row_multipass_kernelILj256ELj32ELj16EilEEvT3_S1_S1_S1_S1_21rocsparse_index_base_PKT2_PKS1_S2_PS3_ ; -- Begin function _ZN9rocsparseL46csr2bsr_nnz_wavefront_per_row_multipass_kernelILj256ELj32ELj16EilEEvT3_S1_S1_S1_S1_21rocsparse_index_base_PKT2_PKS1_S2_PS3_
	.p2align	8
	.type	_ZN9rocsparseL46csr2bsr_nnz_wavefront_per_row_multipass_kernelILj256ELj32ELj16EilEEvT3_S1_S1_S1_S1_21rocsparse_index_base_PKT2_PKS1_S2_PS3_,@function
_ZN9rocsparseL46csr2bsr_nnz_wavefront_per_row_multipass_kernelILj256ELj32ELj16EilEEvT3_S1_S1_S1_S1_21rocsparse_index_base_PKT2_PKS1_S2_PS3_: ; @_ZN9rocsparseL46csr2bsr_nnz_wavefront_per_row_multipass_kernelILj256ELj32ELj16EilEEvT3_S1_S1_S1_S1_21rocsparse_index_base_PKT2_PKS1_S2_PS3_
; %bb.0:
	s_load_b64 s[10:11], s[0:1], 0x20
	v_lshrrev_b32_e32 v10, 5, v0
	s_mov_b32 s8, s15
	s_ashr_i32 s9, s15, 31
	s_clause 0x1
	s_load_b64 s[14:15], s[0:1], 0x0
	s_load_b128 s[4:7], s[0:1], 0x10
	s_lshl_b64 s[2:3], s[8:9], 3
	v_dual_mov_b32 v2, 0 :: v_dual_lshlrev_b32 v11, 3, v10
	v_or_b32_e32 v5, s2, v10
	v_bfe_u32 v1, v0, 1, 4
	s_clause 0x1
	s_load_b32 s9, s[0:1], 0x28
	s_load_b64 s[12:13], s[0:1], 0x30
	s_waitcnt lgkmcnt(0)
	v_mul_lo_u32 v6, v5, s11
	v_mad_u64_u32 v[3:4], null, v5, s10, v[1:2]
	s_mul_i32 s2, s3, s10
	v_mov_b32_e32 v5, v2
	s_delay_alu instid0(VALU_DEP_2) | instskip(SKIP_2) | instid1(VALU_DEP_3)
	v_add3_u32 v4, s2, v4, v6
	v_cmp_gt_i64_e64 s2, s[10:11], v[1:2]
	v_dual_mov_b32 v6, v2 :: v_dual_mov_b32 v1, 0
	v_cmp_gt_i64_e32 vcc_lo, s[14:15], v[3:4]
	ds_store_b64 v11, v[5:6]
	s_waitcnt lgkmcnt(0)
	s_barrier
	buffer_gl0_inv
	s_and_b32 s2, s2, vcc_lo
	s_delay_alu instid0(SALU_CYCLE_1)
	s_and_saveexec_b32 s3, s2
	s_cbranch_execz .LBB28_2
; %bb.1:
	v_lshlrev_b64 v[5:6], 2, v[3:4]
	s_delay_alu instid0(VALU_DEP_1) | instskip(NEXT) | instid1(VALU_DEP_2)
	v_add_co_u32 v5, vcc_lo, s12, v5
	v_add_co_ci_u32_e32 v6, vcc_lo, s13, v6, vcc_lo
	global_load_b32 v1, v[5:6], off
	s_waitcnt vmcnt(0)
	v_subrev_nc_u32_e32 v1, s9, v1
.LBB28_2:
	s_or_b32 exec_lo, exec_lo, s3
	s_and_saveexec_b32 s3, s2
	s_cbranch_execz .LBB28_4
; %bb.3:
	v_lshlrev_b64 v[2:3], 2, v[3:4]
	s_delay_alu instid0(VALU_DEP_1) | instskip(NEXT) | instid1(VALU_DEP_2)
	v_add_co_u32 v2, vcc_lo, s12, v2
	v_add_co_ci_u32_e32 v3, vcc_lo, s13, v3, vcc_lo
	global_load_b32 v2, v[2:3], off offset:4
	s_waitcnt vmcnt(0)
	v_subrev_nc_u32_e32 v2, s9, v2
.LBB28_4:
	s_or_b32 exec_lo, exec_lo, s3
	v_cmp_lt_i64_e64 s2, s[6:7], 1
	v_and_b32_e32 v12, 31, v0
	s_delay_alu instid0(VALU_DEP_2) | instskip(NEXT) | instid1(VALU_DEP_1)
	s_and_b32 vcc_lo, exec_lo, s2
	v_cmp_eq_u32_e64 s2, 0, v12
	s_cbranch_vccnz .LBB28_22
; %bb.5:
	v_cvt_f32_u32_e32 v3, s10
	v_mbcnt_lo_u32_b32 v6, -1, 0
	s_sub_i32 s3, 0, s10
	s_load_b64 s[12:13], s[0:1], 0x38
	v_dual_mov_b32 v14, 0x7c :: v_dual_and_b32 v13, 1, v0
	v_rcp_iflag_f32_e32 v5, v3
	v_xor_b32_e32 v7, 1, v6
	v_xor_b32_e32 v8, 16, v6
	v_dual_mov_b32 v3, 0 :: v_dual_mov_b32 v0, 0
	v_mov_b32_e32 v4, 0
	s_delay_alu instid0(VALU_DEP_4) | instskip(SKIP_3) | instid1(TRANS32_DEP_1)
	v_cmp_gt_i32_e32 vcc_lo, 32, v7
	v_xor_b32_e32 v9, 8, v6
	v_xor_b32_e32 v16, 4, v6
	;; [unrolled: 1-line block ×3, first 2 shown]
	v_mul_f32_e32 v5, 0x4f7ffffe, v5
	v_cndmask_b32_e32 v7, v6, v7, vcc_lo
	v_cmp_gt_i32_e32 vcc_lo, 32, v8
	v_lshl_or_b32 v15, v6, 2, 4
	s_mov_b32 s18, 0
	v_cvt_u32_f32_e32 v5, v5
	s_ashr_i32 s14, s11, 31
	v_cndmask_b32_e32 v8, v6, v8, vcc_lo
	v_cmp_gt_i32_e32 vcc_lo, 32, v9
	v_mov_b32_e32 v22, 1
	v_mul_lo_u32 v18, s3, v5
	v_cndmask_b32_e32 v9, v6, v9, vcc_lo
	v_cmp_gt_i32_e32 vcc_lo, 32, v16
	s_delay_alu instid0(VALU_DEP_3)
	v_mul_hi_u32 v21, v5, v18
	v_cndmask_b32_e32 v19, v6, v16, vcc_lo
	v_cmp_gt_i32_e32 vcc_lo, 32, v17
	v_lshlrev_b32_e32 v18, 2, v9
	v_lshlrev_b32_e32 v16, 2, v7
	v_cndmask_b32_e32 v6, v6, v17, vcc_lo
	v_add_nc_u32_e32 v21, v5, v21
	s_delay_alu instid0(VALU_DEP_2)
	v_lshlrev_b32_e32 v20, 2, v6
	v_lshlrev_b32_e32 v19, 2, v19
	;; [unrolled: 1-line block ×3, first 2 shown]
	s_branch .LBB28_7
.LBB28_6:                               ;   in Loop: Header=BB28_7 Depth=1
	s_or_b32 exec_lo, exec_lo, s3
	ds_bpermute_b32 v3, v17, v5
	ds_bpermute_b32 v4, v17, v6
	s_waitcnt lgkmcnt(0)
	buffer_gl0_inv
	v_cmp_lt_i64_e32 vcc_lo, v[3:4], v[5:6]
	v_dual_cndmask_b32 v4, v6, v4 :: v_dual_cndmask_b32 v3, v5, v3
	ds_bpermute_b32 v6, v18, v4
	ds_bpermute_b32 v5, v18, v3
	s_waitcnt lgkmcnt(0)
	v_cmp_lt_i64_e32 vcc_lo, v[5:6], v[3:4]
	v_dual_cndmask_b32 v4, v4, v6 :: v_dual_cndmask_b32 v3, v3, v5
	ds_bpermute_b32 v6, v19, v4
	ds_bpermute_b32 v5, v19, v3
	s_waitcnt lgkmcnt(0)
	;; [unrolled: 5-line block ×4, first 2 shown]
	v_cmp_lt_i64_e32 vcc_lo, v[5:6], v[3:4]
	v_cndmask_b32_e32 v3, v3, v5, vcc_lo
	ds_bpermute_b32 v3, v14, v3
	s_waitcnt lgkmcnt(0)
	v_ashrrev_i32_e32 v4, 31, v3
	s_delay_alu instid0(VALU_DEP_1) | instskip(SKIP_1) | instid1(SALU_CYCLE_1)
	v_cmp_le_i64_e32 vcc_lo, s[6:7], v[3:4]
	s_or_b32 s18, vcc_lo, s18
	s_and_not1_b32 exec_lo, exec_lo, s18
	s_cbranch_execz .LBB28_21
.LBB28_7:                               ; =>This Loop Header: Depth=1
                                        ;     Child Loop BB28_10 Depth 2
	v_mov_b32_e32 v5, s6
	v_dual_mov_b32 v6, s7 :: v_dual_add_nc_u32 v7, v1, v13
	v_mov_b32_e32 v1, v2
	s_mov_b32 s19, exec_lo
	ds_store_b8 v10, v0 offset:64
	s_waitcnt lgkmcnt(0)
	buffer_gl0_inv
	v_cmpx_lt_i32_e64 v7, v2
	s_cbranch_execz .LBB28_19
; %bb.8:                                ;   in Loop: Header=BB28_7 Depth=1
	v_dual_mov_b32 v5, s6 :: v_dual_mov_b32 v6, s7
	v_mov_b32_e32 v23, v2
	s_mov_b32 s20, 0
	s_branch .LBB28_10
.LBB28_9:                               ;   in Loop: Header=BB28_10 Depth=2
	s_or_b32 exec_lo, exec_lo, s3
	v_add_nc_u32_e32 v7, 2, v7
	s_xor_b32 s15, vcc_lo, -1
	v_mov_b32_e32 v23, v1
	s_delay_alu instid0(VALU_DEP_2) | instskip(NEXT) | instid1(VALU_DEP_1)
	v_cmp_ge_i32_e64 s3, v7, v2
	s_or_b32 s3, s15, s3
	s_delay_alu instid0(SALU_CYCLE_1) | instskip(NEXT) | instid1(SALU_CYCLE_1)
	s_and_b32 s3, exec_lo, s3
	s_or_b32 s20, s3, s20
	s_delay_alu instid0(SALU_CYCLE_1)
	s_and_not1_b32 exec_lo, exec_lo, s20
	s_cbranch_execz .LBB28_18
.LBB28_10:                              ;   Parent Loop BB28_7 Depth=1
                                        ; =>  This Inner Loop Header: Depth=2
	v_ashrrev_i32_e32 v8, 31, v7
	s_mov_b32 s3, exec_lo
	s_delay_alu instid0(VALU_DEP_1) | instskip(NEXT) | instid1(VALU_DEP_1)
	v_lshlrev_b64 v[8:9], 3, v[7:8]
	v_add_co_u32 v8, vcc_lo, s12, v8
	s_delay_alu instid0(VALU_DEP_2) | instskip(SKIP_4) | instid1(VALU_DEP_1)
	v_add_co_ci_u32_e32 v9, vcc_lo, s13, v9, vcc_lo
	global_load_b64 v[8:9], v[8:9], off
	s_waitcnt vmcnt(0)
	v_sub_co_u32 v24, vcc_lo, v8, s9
	v_subrev_co_ci_u32_e32 v25, vcc_lo, 0, v9, vcc_lo
                                        ; implicit-def: $vgpr8_vgpr9
	v_or_b32_e32 v1, s11, v25
	s_delay_alu instid0(VALU_DEP_1)
	v_cmpx_ne_u64_e32 0, v[0:1]
	s_xor_b32 s21, exec_lo, s3
	s_cbranch_execz .LBB28_12
; %bb.11:                               ;   in Loop: Header=BB28_10 Depth=2
	s_add_u32 s16, s10, s14
	s_mov_b32 s15, s14
	s_addc_u32 s17, s11, s14
	s_delay_alu instid0(SALU_CYCLE_1) | instskip(NEXT) | instid1(SALU_CYCLE_1)
	s_xor_b64 s[16:17], s[16:17], s[14:15]
	v_cvt_f32_u32_e32 v1, s16
	v_cvt_f32_u32_e32 v8, s17
	s_sub_u32 s3, 0, s16
	s_subb_u32 s15, 0, s17
	s_delay_alu instid0(VALU_DEP_1) | instskip(NEXT) | instid1(VALU_DEP_1)
	v_fmac_f32_e32 v1, 0x4f800000, v8
	v_rcp_f32_e32 v1, v1
	s_waitcnt_depctr 0xfff
	v_mul_f32_e32 v1, 0x5f7ffffc, v1
	s_delay_alu instid0(VALU_DEP_1) | instskip(NEXT) | instid1(VALU_DEP_1)
	v_mul_f32_e32 v8, 0x2f800000, v1
	v_trunc_f32_e32 v8, v8
	s_delay_alu instid0(VALU_DEP_1) | instskip(SKIP_1) | instid1(VALU_DEP_2)
	v_fmac_f32_e32 v1, 0xcf800000, v8
	v_cvt_u32_f32_e32 v8, v8
	v_cvt_u32_f32_e32 v1, v1
	s_delay_alu instid0(VALU_DEP_2) | instskip(NEXT) | instid1(VALU_DEP_2)
	v_mul_lo_u32 v9, s3, v8
	v_mul_hi_u32 v26, s3, v1
	v_mul_lo_u32 v27, s15, v1
	s_delay_alu instid0(VALU_DEP_2) | instskip(SKIP_1) | instid1(VALU_DEP_2)
	v_add_nc_u32_e32 v9, v26, v9
	v_mul_lo_u32 v26, s3, v1
	v_add_nc_u32_e32 v9, v9, v27
	s_delay_alu instid0(VALU_DEP_2) | instskip(NEXT) | instid1(VALU_DEP_2)
	v_mul_hi_u32 v27, v1, v26
	v_mul_lo_u32 v28, v1, v9
	v_mul_hi_u32 v29, v1, v9
	v_mul_hi_u32 v30, v8, v26
	v_mul_lo_u32 v26, v8, v26
	v_mul_hi_u32 v31, v8, v9
	v_mul_lo_u32 v9, v8, v9
	v_add_co_u32 v27, vcc_lo, v27, v28
	v_add_co_ci_u32_e32 v28, vcc_lo, 0, v29, vcc_lo
	s_delay_alu instid0(VALU_DEP_2) | instskip(NEXT) | instid1(VALU_DEP_2)
	v_add_co_u32 v26, vcc_lo, v27, v26
	v_add_co_ci_u32_e32 v26, vcc_lo, v28, v30, vcc_lo
	v_add_co_ci_u32_e32 v27, vcc_lo, 0, v31, vcc_lo
	v_ashrrev_i32_e32 v30, 31, v25
	s_delay_alu instid0(VALU_DEP_3) | instskip(NEXT) | instid1(VALU_DEP_3)
	v_add_co_u32 v9, vcc_lo, v26, v9
	v_add_co_ci_u32_e32 v26, vcc_lo, 0, v27, vcc_lo
	s_delay_alu instid0(VALU_DEP_2) | instskip(NEXT) | instid1(VALU_DEP_2)
	v_add_co_u32 v1, vcc_lo, v1, v9
	v_add_co_ci_u32_e32 v8, vcc_lo, v8, v26, vcc_lo
	s_delay_alu instid0(VALU_DEP_2) | instskip(SKIP_1) | instid1(VALU_DEP_3)
	v_mul_hi_u32 v9, s3, v1
	v_mul_lo_u32 v27, s15, v1
	v_mul_lo_u32 v26, s3, v8
	s_delay_alu instid0(VALU_DEP_1) | instskip(SKIP_1) | instid1(VALU_DEP_2)
	v_add_nc_u32_e32 v9, v9, v26
	v_mul_lo_u32 v26, s3, v1
	v_add_nc_u32_e32 v9, v9, v27
	s_delay_alu instid0(VALU_DEP_2) | instskip(NEXT) | instid1(VALU_DEP_2)
	v_mul_hi_u32 v27, v1, v26
	v_mul_lo_u32 v28, v1, v9
	v_mul_hi_u32 v29, v1, v9
	v_mul_hi_u32 v31, v8, v26
	v_mul_lo_u32 v26, v8, v26
	v_mul_hi_u32 v32, v8, v9
	v_mul_lo_u32 v9, v8, v9
	v_add_co_u32 v27, vcc_lo, v27, v28
	v_add_co_ci_u32_e32 v28, vcc_lo, 0, v29, vcc_lo
	s_delay_alu instid0(VALU_DEP_2) | instskip(NEXT) | instid1(VALU_DEP_2)
	v_add_co_u32 v26, vcc_lo, v27, v26
	v_add_co_ci_u32_e32 v26, vcc_lo, v28, v31, vcc_lo
	v_add_co_ci_u32_e32 v27, vcc_lo, 0, v32, vcc_lo
	v_add_co_u32 v24, vcc_lo, v24, v30
	v_add_co_ci_u32_e32 v25, vcc_lo, v25, v30, vcc_lo
	s_delay_alu instid0(VALU_DEP_4) | instskip(NEXT) | instid1(VALU_DEP_4)
	v_add_co_u32 v9, vcc_lo, v26, v9
	v_add_co_ci_u32_e32 v26, vcc_lo, 0, v27, vcc_lo
	s_delay_alu instid0(VALU_DEP_4) | instskip(NEXT) | instid1(VALU_DEP_3)
	v_xor_b32_e32 v28, v24, v30
	v_add_co_u32 v1, vcc_lo, v1, v9
	s_delay_alu instid0(VALU_DEP_3) | instskip(SKIP_1) | instid1(VALU_DEP_3)
	v_add_co_ci_u32_e32 v29, vcc_lo, v8, v26, vcc_lo
	v_xor_b32_e32 v31, v25, v30
	v_mul_hi_u32 v32, v28, v1
	s_delay_alu instid0(VALU_DEP_3) | instskip(NEXT) | instid1(VALU_DEP_3)
	v_mad_u64_u32 v[8:9], null, v28, v29, 0
	v_mad_u64_u32 v[24:25], null, v31, v1, 0
	;; [unrolled: 1-line block ×3, first 2 shown]
	s_delay_alu instid0(VALU_DEP_3) | instskip(NEXT) | instid1(VALU_DEP_4)
	v_add_co_u32 v1, vcc_lo, v32, v8
	v_add_co_ci_u32_e32 v8, vcc_lo, 0, v9, vcc_lo
	s_delay_alu instid0(VALU_DEP_2) | instskip(NEXT) | instid1(VALU_DEP_2)
	v_add_co_u32 v1, vcc_lo, v1, v24
	v_add_co_ci_u32_e32 v1, vcc_lo, v8, v25, vcc_lo
	v_add_co_ci_u32_e32 v8, vcc_lo, 0, v27, vcc_lo
	s_delay_alu instid0(VALU_DEP_2) | instskip(NEXT) | instid1(VALU_DEP_2)
	v_add_co_u32 v1, vcc_lo, v1, v26
	v_add_co_ci_u32_e32 v24, vcc_lo, 0, v8, vcc_lo
	s_delay_alu instid0(VALU_DEP_2) | instskip(SKIP_1) | instid1(VALU_DEP_3)
	v_mul_lo_u32 v25, s17, v1
	v_mad_u64_u32 v[8:9], null, s16, v1, 0
	v_mul_lo_u32 v26, s16, v24
	s_delay_alu instid0(VALU_DEP_2) | instskip(NEXT) | instid1(VALU_DEP_2)
	v_sub_co_u32 v8, vcc_lo, v28, v8
	v_add3_u32 v9, v9, v26, v25
	s_delay_alu instid0(VALU_DEP_1) | instskip(NEXT) | instid1(VALU_DEP_1)
	v_sub_nc_u32_e32 v25, v31, v9
	v_subrev_co_ci_u32_e64 v25, s3, s17, v25, vcc_lo
	v_add_co_u32 v26, s3, v1, 2
	s_delay_alu instid0(VALU_DEP_1) | instskip(SKIP_3) | instid1(VALU_DEP_3)
	v_add_co_ci_u32_e64 v27, s3, 0, v24, s3
	v_sub_co_u32 v28, s3, v8, s16
	v_sub_co_ci_u32_e32 v9, vcc_lo, v31, v9, vcc_lo
	v_subrev_co_ci_u32_e64 v25, s3, 0, v25, s3
	v_cmp_le_u32_e32 vcc_lo, s16, v28
	s_delay_alu instid0(VALU_DEP_3) | instskip(SKIP_1) | instid1(VALU_DEP_4)
	v_cmp_eq_u32_e64 s3, s17, v9
	v_cndmask_b32_e64 v28, 0, -1, vcc_lo
	v_cmp_le_u32_e32 vcc_lo, s17, v25
	v_cndmask_b32_e64 v29, 0, -1, vcc_lo
	v_cmp_le_u32_e32 vcc_lo, s16, v8
	;; [unrolled: 2-line block ×3, first 2 shown]
	v_cndmask_b32_e64 v31, 0, -1, vcc_lo
	v_cmp_eq_u32_e32 vcc_lo, s17, v25
	s_delay_alu instid0(VALU_DEP_2) | instskip(SKIP_3) | instid1(VALU_DEP_3)
	v_cndmask_b32_e64 v8, v31, v8, s3
	v_cndmask_b32_e32 v25, v29, v28, vcc_lo
	v_add_co_u32 v28, vcc_lo, v1, 1
	v_add_co_ci_u32_e32 v29, vcc_lo, 0, v24, vcc_lo
	v_cmp_ne_u32_e32 vcc_lo, 0, v25
	s_delay_alu instid0(VALU_DEP_2) | instskip(NEXT) | instid1(VALU_DEP_4)
	v_cndmask_b32_e32 v9, v29, v27, vcc_lo
	v_cndmask_b32_e32 v25, v28, v26, vcc_lo
	v_cmp_ne_u32_e32 vcc_lo, 0, v8
	v_xor_b32_e32 v26, s14, v30
	s_delay_alu instid0(VALU_DEP_3) | instskip(SKIP_1) | instid1(VALU_DEP_2)
	v_cndmask_b32_e32 v1, v1, v25, vcc_lo
	v_cndmask_b32_e32 v8, v24, v9, vcc_lo
                                        ; implicit-def: $vgpr24
	v_xor_b32_e32 v1, v1, v26
	s_delay_alu instid0(VALU_DEP_2) | instskip(NEXT) | instid1(VALU_DEP_2)
	v_xor_b32_e32 v9, v8, v26
	v_sub_co_u32 v8, vcc_lo, v1, v26
	s_delay_alu instid0(VALU_DEP_2)
	v_sub_co_ci_u32_e32 v9, vcc_lo, v9, v26, vcc_lo
.LBB28_12:                              ;   in Loop: Header=BB28_10 Depth=2
	s_and_not1_saveexec_b32 s3, s21
; %bb.13:                               ;   in Loop: Header=BB28_10 Depth=2
	v_mul_hi_u32 v1, v24, v21
	s_delay_alu instid0(VALU_DEP_1) | instskip(NEXT) | instid1(VALU_DEP_1)
	v_mul_lo_u32 v8, v1, s10
	v_sub_nc_u32_e32 v8, v24, v8
	s_delay_alu instid0(VALU_DEP_1) | instskip(SKIP_1) | instid1(VALU_DEP_2)
	v_subrev_nc_u32_e32 v24, s10, v8
	v_cmp_le_u32_e32 vcc_lo, s10, v8
	v_dual_cndmask_b32 v8, v8, v24 :: v_dual_add_nc_u32 v9, 1, v1
	s_delay_alu instid0(VALU_DEP_1) | instskip(NEXT) | instid1(VALU_DEP_2)
	v_cndmask_b32_e32 v1, v1, v9, vcc_lo
	v_cmp_le_u32_e32 vcc_lo, s10, v8
	s_delay_alu instid0(VALU_DEP_2) | instskip(NEXT) | instid1(VALU_DEP_1)
	v_add_nc_u32_e32 v9, 1, v1
	v_dual_cndmask_b32 v8, v1, v9 :: v_dual_mov_b32 v9, v0
; %bb.14:                               ;   in Loop: Header=BB28_10 Depth=2
	s_or_b32 exec_lo, exec_lo, s3
	s_delay_alu instid0(VALU_DEP_1)
	v_cmp_eq_u64_e32 vcc_lo, v[8:9], v[3:4]
	s_mov_b32 s15, exec_lo
	v_cmpx_ne_u64_e64 v[8:9], v[3:4]
	s_xor_b32 s15, exec_lo, s15
; %bb.15:                               ;   in Loop: Header=BB28_10 Depth=2
	v_cmp_lt_i64_e64 s3, v[8:9], v[5:6]
                                        ; implicit-def: $vgpr23
	s_delay_alu instid0(VALU_DEP_1)
	v_cndmask_b32_e64 v6, v6, v9, s3
	v_cndmask_b32_e64 v5, v5, v8, s3
; %bb.16:                               ;   in Loop: Header=BB28_10 Depth=2
	s_or_saveexec_b32 s3, s15
	v_mov_b32_e32 v1, v7
	s_xor_b32 exec_lo, exec_lo, s3
	s_cbranch_execz .LBB28_9
; %bb.17:                               ;   in Loop: Header=BB28_10 Depth=2
	v_mov_b32_e32 v1, v23
	ds_store_b8 v10, v22 offset:64
	s_branch .LBB28_9
.LBB28_18:                              ;   in Loop: Header=BB28_7 Depth=1
	s_or_b32 exec_lo, exec_lo, s20
.LBB28_19:                              ;   in Loop: Header=BB28_7 Depth=1
	s_delay_alu instid0(SALU_CYCLE_1)
	s_or_b32 exec_lo, exec_lo, s19
	ds_bpermute_b32 v3, v16, v1
	s_waitcnt lgkmcnt(0)
	buffer_gl0_inv
	ds_load_u8 v4, v10 offset:64
	v_min_i32_e32 v1, v3, v1
	s_waitcnt lgkmcnt(0)
	v_and_b32_e32 v3, 1, v4
	ds_bpermute_b32 v1, v15, v1
	v_cmp_eq_u32_e32 vcc_lo, 1, v3
	s_and_b32 s15, s2, vcc_lo
	s_delay_alu instid0(SALU_CYCLE_1)
	s_and_saveexec_b32 s3, s15
	s_cbranch_execz .LBB28_6
; %bb.20:                               ;   in Loop: Header=BB28_7 Depth=1
	ds_load_b64 v[3:4], v11
	s_waitcnt lgkmcnt(0)
	v_add_co_u32 v3, vcc_lo, v3, 1
	v_add_co_ci_u32_e32 v4, vcc_lo, 0, v4, vcc_lo
	ds_store_b64 v11, v[3:4]
	s_branch .LBB28_6
.LBB28_21:
	s_or_b32 exec_lo, exec_lo, s18
.LBB28_22:
	s_delay_alu instid0(SALU_CYCLE_1)
	s_mov_b32 s2, exec_lo
	v_cmpx_eq_u32_e32 0, v12
	s_cbranch_execz .LBB28_25
; %bb.23:
	s_clause 0x1
	s_load_b32 s2, s[0:1], 0x40
	s_load_b64 s[0:1], s[0:1], 0x48
	v_mov_b32_e32 v1, 0
	v_lshl_or_b32 v0, s8, 3, v10
	s_waitcnt lgkmcnt(0)
	v_mov_b32_e32 v2, s2
	s_delay_alu instid0(VALU_DEP_2)
	v_cmp_gt_i64_e32 vcc_lo, s[4:5], v[0:1]
	global_store_b32 v1, v2, s[0:1]
	s_and_b32 exec_lo, exec_lo, vcc_lo
	s_cbranch_execz .LBB28_25
; %bb.24:
	ds_load_b32 v2, v11
	v_add_nc_u32_e32 v0, 1, v0
	s_delay_alu instid0(VALU_DEP_1) | instskip(NEXT) | instid1(VALU_DEP_1)
	v_lshlrev_b64 v[0:1], 2, v[0:1]
	v_add_co_u32 v0, vcc_lo, s0, v0
	s_delay_alu instid0(VALU_DEP_2)
	v_add_co_ci_u32_e32 v1, vcc_lo, s1, v1, vcc_lo
	s_waitcnt lgkmcnt(0)
	global_store_b32 v[0:1], v2, off
.LBB28_25:
	s_nop 0
	s_sendmsg sendmsg(MSG_DEALLOC_VGPRS)
	s_endpgm
	.section	.rodata,"a",@progbits
	.p2align	6, 0x0
	.amdhsa_kernel _ZN9rocsparseL46csr2bsr_nnz_wavefront_per_row_multipass_kernelILj256ELj32ELj16EilEEvT3_S1_S1_S1_S1_21rocsparse_index_base_PKT2_PKS1_S2_PS3_
		.amdhsa_group_segment_fixed_size 72
		.amdhsa_private_segment_fixed_size 0
		.amdhsa_kernarg_size 80
		.amdhsa_user_sgpr_count 15
		.amdhsa_user_sgpr_dispatch_ptr 0
		.amdhsa_user_sgpr_queue_ptr 0
		.amdhsa_user_sgpr_kernarg_segment_ptr 1
		.amdhsa_user_sgpr_dispatch_id 0
		.amdhsa_user_sgpr_private_segment_size 0
		.amdhsa_wavefront_size32 1
		.amdhsa_uses_dynamic_stack 0
		.amdhsa_enable_private_segment 0
		.amdhsa_system_sgpr_workgroup_id_x 1
		.amdhsa_system_sgpr_workgroup_id_y 0
		.amdhsa_system_sgpr_workgroup_id_z 0
		.amdhsa_system_sgpr_workgroup_info 0
		.amdhsa_system_vgpr_workitem_id 0
		.amdhsa_next_free_vgpr 33
		.amdhsa_next_free_sgpr 22
		.amdhsa_reserve_vcc 1
		.amdhsa_float_round_mode_32 0
		.amdhsa_float_round_mode_16_64 0
		.amdhsa_float_denorm_mode_32 3
		.amdhsa_float_denorm_mode_16_64 3
		.amdhsa_dx10_clamp 1
		.amdhsa_ieee_mode 1
		.amdhsa_fp16_overflow 0
		.amdhsa_workgroup_processor_mode 1
		.amdhsa_memory_ordered 1
		.amdhsa_forward_progress 0
		.amdhsa_shared_vgpr_count 0
		.amdhsa_exception_fp_ieee_invalid_op 0
		.amdhsa_exception_fp_denorm_src 0
		.amdhsa_exception_fp_ieee_div_zero 0
		.amdhsa_exception_fp_ieee_overflow 0
		.amdhsa_exception_fp_ieee_underflow 0
		.amdhsa_exception_fp_ieee_inexact 0
		.amdhsa_exception_int_div_zero 0
	.end_amdhsa_kernel
	.section	.text._ZN9rocsparseL46csr2bsr_nnz_wavefront_per_row_multipass_kernelILj256ELj32ELj16EilEEvT3_S1_S1_S1_S1_21rocsparse_index_base_PKT2_PKS1_S2_PS3_,"axG",@progbits,_ZN9rocsparseL46csr2bsr_nnz_wavefront_per_row_multipass_kernelILj256ELj32ELj16EilEEvT3_S1_S1_S1_S1_21rocsparse_index_base_PKT2_PKS1_S2_PS3_,comdat
.Lfunc_end28:
	.size	_ZN9rocsparseL46csr2bsr_nnz_wavefront_per_row_multipass_kernelILj256ELj32ELj16EilEEvT3_S1_S1_S1_S1_21rocsparse_index_base_PKT2_PKS1_S2_PS3_, .Lfunc_end28-_ZN9rocsparseL46csr2bsr_nnz_wavefront_per_row_multipass_kernelILj256ELj32ELj16EilEEvT3_S1_S1_S1_S1_21rocsparse_index_base_PKT2_PKS1_S2_PS3_
                                        ; -- End function
	.section	.AMDGPU.csdata,"",@progbits
; Kernel info:
; codeLenInByte = 2172
; NumSgprs: 24
; NumVgprs: 33
; ScratchSize: 0
; MemoryBound: 0
; FloatMode: 240
; IeeeMode: 1
; LDSByteSize: 72 bytes/workgroup (compile time only)
; SGPRBlocks: 2
; VGPRBlocks: 4
; NumSGPRsForWavesPerEU: 24
; NumVGPRsForWavesPerEU: 33
; Occupancy: 16
; WaveLimiterHint : 0
; COMPUTE_PGM_RSRC2:SCRATCH_EN: 0
; COMPUTE_PGM_RSRC2:USER_SGPR: 15
; COMPUTE_PGM_RSRC2:TRAP_HANDLER: 0
; COMPUTE_PGM_RSRC2:TGID_X_EN: 1
; COMPUTE_PGM_RSRC2:TGID_Y_EN: 0
; COMPUTE_PGM_RSRC2:TGID_Z_EN: 0
; COMPUTE_PGM_RSRC2:TIDIG_COMP_CNT: 0
	.section	.text._ZN9rocsparseL42csr2bsr_nnz_block_per_row_multipass_kernelILj256ELj32EilEEvT2_S1_S1_S1_S1_21rocsparse_index_base_PKT1_PKS1_S2_PS3_,"axG",@progbits,_ZN9rocsparseL42csr2bsr_nnz_block_per_row_multipass_kernelILj256ELj32EilEEvT2_S1_S1_S1_S1_21rocsparse_index_base_PKT1_PKS1_S2_PS3_,comdat
	.globl	_ZN9rocsparseL42csr2bsr_nnz_block_per_row_multipass_kernelILj256ELj32EilEEvT2_S1_S1_S1_S1_21rocsparse_index_base_PKT1_PKS1_S2_PS3_ ; -- Begin function _ZN9rocsparseL42csr2bsr_nnz_block_per_row_multipass_kernelILj256ELj32EilEEvT2_S1_S1_S1_S1_21rocsparse_index_base_PKT1_PKS1_S2_PS3_
	.p2align	8
	.type	_ZN9rocsparseL42csr2bsr_nnz_block_per_row_multipass_kernelILj256ELj32EilEEvT2_S1_S1_S1_S1_21rocsparse_index_base_PKT1_PKS1_S2_PS3_,@function
_ZN9rocsparseL42csr2bsr_nnz_block_per_row_multipass_kernelILj256ELj32EilEEvT2_S1_S1_S1_S1_21rocsparse_index_base_PKT1_PKS1_S2_PS3_: ; @_ZN9rocsparseL42csr2bsr_nnz_block_per_row_multipass_kernelILj256ELj32EilEEvT2_S1_S1_S1_S1_21rocsparse_index_base_PKT1_PKS1_S2_PS3_
; %bb.0:
	s_mov_b32 s16, s15
	s_clause 0x1
	s_load_b128 s[12:15], s[0:1], 0x18
	s_load_b64 s[2:3], s[0:1], 0x0
	v_dual_mov_b32 v2, 0 :: v_dual_mov_b32 v9, 0
	v_lshrrev_b32_e32 v1, 3, v0
	s_clause 0x1
	s_load_b32 s11, s[0:1], 0x28
	s_load_b64 s[4:5], s[0:1], 0x30
	s_ashr_i32 s17, s16, 31
	v_mov_b32_e32 v5, v2
	v_mov_b32_e32 v6, v2
	ds_store_b64 v2, v[5:6] offset:2048
	s_waitcnt lgkmcnt(0)
	s_barrier
	buffer_gl0_inv
	v_mad_u64_u32 v[3:4], null, s16, s14, v[1:2]
	s_mul_i32 s6, s16, s15
	s_mul_i32 s7, s17, s14
	s_delay_alu instid0(VALU_DEP_1) | instid1(SALU_CYCLE_1)
	v_add3_u32 v4, s6, s7, v4
	s_delay_alu instid0(VALU_DEP_1) | instskip(SKIP_1) | instid1(VALU_DEP_1)
	v_cmp_gt_i64_e32 vcc_lo, s[2:3], v[3:4]
	v_cmp_gt_i64_e64 s2, s[14:15], v[1:2]
	s_and_b32 s2, s2, vcc_lo
	s_delay_alu instid0(SALU_CYCLE_1)
	s_and_saveexec_b32 s3, s2
	s_cbranch_execz .LBB29_2
; %bb.1:
	v_lshlrev_b64 v[5:6], 2, v[3:4]
	s_delay_alu instid0(VALU_DEP_1) | instskip(NEXT) | instid1(VALU_DEP_2)
	v_add_co_u32 v5, vcc_lo, s4, v5
	v_add_co_ci_u32_e32 v6, vcc_lo, s5, v6, vcc_lo
	global_load_b32 v1, v[5:6], off
	s_waitcnt vmcnt(0)
	v_subrev_nc_u32_e32 v9, s11, v1
.LBB29_2:
	s_or_b32 exec_lo, exec_lo, s3
	s_and_saveexec_b32 s3, s2
	s_cbranch_execz .LBB29_4
; %bb.3:
	v_lshlrev_b64 v[1:2], 2, v[3:4]
	s_delay_alu instid0(VALU_DEP_1) | instskip(NEXT) | instid1(VALU_DEP_2)
	v_add_co_u32 v1, vcc_lo, s4, v1
	v_add_co_ci_u32_e32 v2, vcc_lo, s5, v2, vcc_lo
	global_load_b32 v1, v[1:2], off offset:4
	s_waitcnt vmcnt(0)
	v_subrev_nc_u32_e32 v2, s11, v1
.LBB29_4:
	s_or_b32 exec_lo, exec_lo, s3
	v_cmp_lt_i64_e64 s2, s[12:13], 1
	s_delay_alu instid0(VALU_DEP_1)
	s_and_b32 vcc_lo, exec_lo, s2
	v_cmp_eq_u32_e64 s2, 0, v0
	s_cbranch_vccnz .LBB29_37
; %bb.5:
	v_cvt_f32_u32_e32 v1, s14
	v_mbcnt_lo_u32_b32 v4, -1, 0
	s_sub_i32 s10, 0, s14
	s_load_b64 s[18:19], s[0:1], 0x38
	v_cmp_gt_u32_e64 s3, 0x80, v0
	v_rcp_iflag_f32_e32 v3, v1
	v_lshlrev_b32_e32 v12, 3, v0
	v_xor_b32_e32 v10, 2, v4
	v_xor_b32_e32 v11, 1, v4
	v_and_b32_e32 v1, 7, v0
	v_cmp_gt_u32_e64 s4, 64, v0
	v_cmp_gt_u32_e64 s5, 32, v0
	;; [unrolled: 1-line block ×5, first 2 shown]
	v_mul_f32_e32 v3, 0x4f7ffffe, v3
	v_cmp_gt_u32_e64 s9, 2, v0
	v_lshl_or_b32 v13, v4, 2, 28
	s_ashr_i32 s20, s15, 31
	v_mov_b32_e32 v18, 1
	v_cvt_u32_f32_e32 v7, v3
	v_xor_b32_e32 v3, 4, v4
	s_delay_alu instid0(VALU_DEP_2) | instskip(NEXT) | instid1(VALU_DEP_2)
	v_mul_lo_u32 v8, s10, v7
	v_cmp_gt_i32_e32 vcc_lo, 32, v3
	v_mov_b32_e32 v5, 0
	v_mov_b32_e32 v6, 0
	v_cndmask_b32_e32 v14, v4, v3, vcc_lo
	v_cmp_gt_i32_e32 vcc_lo, 32, v10
	v_mul_hi_u32 v8, v7, v8
	s_delay_alu instid0(VALU_DEP_3) | instskip(SKIP_2) | instid1(VALU_DEP_4)
	v_dual_mov_b32 v3, 0 :: v_dual_lshlrev_b32 v14, 2, v14
	v_cndmask_b32_e32 v10, v4, v10, vcc_lo
	v_cmp_gt_i32_e32 vcc_lo, 32, v11
	v_add_nc_u32_e32 v17, v7, v8
	s_delay_alu instid0(VALU_DEP_3) | instskip(SKIP_1) | instid1(VALU_DEP_1)
	v_lshlrev_b32_e32 v15, 2, v10
	v_cndmask_b32_e32 v11, v4, v11, vcc_lo
	v_lshlrev_b32_e32 v16, 2, v11
	s_branch .LBB29_7
.LBB29_6:                               ;   in Loop: Header=BB29_7 Depth=1
	s_or_b32 exec_lo, exec_lo, s10
	s_waitcnt lgkmcnt(0)
	s_barrier
	buffer_gl0_inv
	ds_load_b32 v5, v3
	s_waitcnt lgkmcnt(0)
	s_barrier
	buffer_gl0_inv
	v_ashrrev_i32_e32 v6, 31, v5
	s_delay_alu instid0(VALU_DEP_1)
	v_cmp_gt_i64_e32 vcc_lo, s[12:13], v[5:6]
	s_cbranch_vccz .LBB29_37
.LBB29_7:                               ; =>This Loop Header: Depth=1
                                        ;     Child Loop BB29_10 Depth 2
	v_dual_mov_b32 v7, s12 :: v_dual_mov_b32 v4, v2
	v_dual_mov_b32 v8, s13 :: v_dual_add_nc_u32 v9, v9, v1
	s_mov_b32 s24, exec_lo
	ds_store_b8 v3, v3 offset:2056
	s_waitcnt lgkmcnt(0)
	s_barrier
	buffer_gl0_inv
	v_cmpx_lt_i32_e64 v9, v2
	s_cbranch_execz .LBB29_19
; %bb.8:                                ;   in Loop: Header=BB29_7 Depth=1
	v_dual_mov_b32 v7, s12 :: v_dual_mov_b32 v8, s13
	v_mov_b32_e32 v19, v2
	s_mov_b32 s25, 0
	s_branch .LBB29_10
.LBB29_9:                               ;   in Loop: Header=BB29_10 Depth=2
	s_or_b32 exec_lo, exec_lo, s10
	v_add_nc_u32_e32 v9, 8, v9
	s_xor_b32 s21, vcc_lo, -1
	v_mov_b32_e32 v19, v4
	s_delay_alu instid0(VALU_DEP_2) | instskip(NEXT) | instid1(VALU_DEP_1)
	v_cmp_ge_i32_e64 s10, v9, v2
	s_or_b32 s10, s21, s10
	s_delay_alu instid0(SALU_CYCLE_1) | instskip(NEXT) | instid1(SALU_CYCLE_1)
	s_and_b32 s10, exec_lo, s10
	s_or_b32 s25, s10, s25
	s_delay_alu instid0(SALU_CYCLE_1)
	s_and_not1_b32 exec_lo, exec_lo, s25
	s_cbranch_execz .LBB29_18
.LBB29_10:                              ;   Parent Loop BB29_7 Depth=1
                                        ; =>  This Inner Loop Header: Depth=2
	v_ashrrev_i32_e32 v10, 31, v9
	s_mov_b32 s10, exec_lo
	s_delay_alu instid0(VALU_DEP_1) | instskip(NEXT) | instid1(VALU_DEP_1)
	v_lshlrev_b64 v[10:11], 3, v[9:10]
	v_add_co_u32 v10, vcc_lo, s18, v10
	s_delay_alu instid0(VALU_DEP_2) | instskip(SKIP_4) | instid1(VALU_DEP_1)
	v_add_co_ci_u32_e32 v11, vcc_lo, s19, v11, vcc_lo
	global_load_b64 v[10:11], v[10:11], off
	s_waitcnt vmcnt(0)
	v_sub_co_u32 v20, vcc_lo, v10, s11
	v_subrev_co_ci_u32_e32 v21, vcc_lo, 0, v11, vcc_lo
                                        ; implicit-def: $vgpr10_vgpr11
	v_or_b32_e32 v4, s15, v21
	s_delay_alu instid0(VALU_DEP_1)
	v_cmpx_ne_u64_e32 0, v[3:4]
	s_xor_b32 s26, exec_lo, s10
	s_cbranch_execz .LBB29_12
; %bb.11:                               ;   in Loop: Header=BB29_10 Depth=2
	s_add_u32 s22, s14, s20
	s_mov_b32 s21, s20
	s_addc_u32 s23, s15, s20
	s_delay_alu instid0(SALU_CYCLE_1) | instskip(NEXT) | instid1(SALU_CYCLE_1)
	s_xor_b64 s[22:23], s[22:23], s[20:21]
	v_cvt_f32_u32_e32 v4, s22
	v_cvt_f32_u32_e32 v10, s23
	s_sub_u32 s10, 0, s22
	s_subb_u32 s21, 0, s23
	s_delay_alu instid0(VALU_DEP_1) | instskip(NEXT) | instid1(VALU_DEP_1)
	v_fmac_f32_e32 v4, 0x4f800000, v10
	v_rcp_f32_e32 v4, v4
	s_waitcnt_depctr 0xfff
	v_mul_f32_e32 v4, 0x5f7ffffc, v4
	s_delay_alu instid0(VALU_DEP_1) | instskip(NEXT) | instid1(VALU_DEP_1)
	v_mul_f32_e32 v10, 0x2f800000, v4
	v_trunc_f32_e32 v10, v10
	s_delay_alu instid0(VALU_DEP_1) | instskip(SKIP_1) | instid1(VALU_DEP_2)
	v_fmac_f32_e32 v4, 0xcf800000, v10
	v_cvt_u32_f32_e32 v10, v10
	v_cvt_u32_f32_e32 v4, v4
	s_delay_alu instid0(VALU_DEP_2) | instskip(NEXT) | instid1(VALU_DEP_2)
	v_mul_lo_u32 v11, s10, v10
	v_mul_hi_u32 v22, s10, v4
	v_mul_lo_u32 v23, s21, v4
	s_delay_alu instid0(VALU_DEP_2) | instskip(SKIP_1) | instid1(VALU_DEP_2)
	v_add_nc_u32_e32 v11, v22, v11
	v_mul_lo_u32 v22, s10, v4
	v_add_nc_u32_e32 v11, v11, v23
	s_delay_alu instid0(VALU_DEP_2) | instskip(NEXT) | instid1(VALU_DEP_2)
	v_mul_hi_u32 v23, v4, v22
	v_mul_lo_u32 v24, v4, v11
	v_mul_hi_u32 v25, v4, v11
	v_mul_hi_u32 v26, v10, v22
	v_mul_lo_u32 v22, v10, v22
	v_mul_hi_u32 v27, v10, v11
	v_mul_lo_u32 v11, v10, v11
	v_add_co_u32 v23, vcc_lo, v23, v24
	v_add_co_ci_u32_e32 v24, vcc_lo, 0, v25, vcc_lo
	s_delay_alu instid0(VALU_DEP_2) | instskip(NEXT) | instid1(VALU_DEP_2)
	v_add_co_u32 v22, vcc_lo, v23, v22
	v_add_co_ci_u32_e32 v22, vcc_lo, v24, v26, vcc_lo
	v_add_co_ci_u32_e32 v23, vcc_lo, 0, v27, vcc_lo
	v_ashrrev_i32_e32 v26, 31, v21
	s_delay_alu instid0(VALU_DEP_3) | instskip(NEXT) | instid1(VALU_DEP_3)
	v_add_co_u32 v11, vcc_lo, v22, v11
	v_add_co_ci_u32_e32 v22, vcc_lo, 0, v23, vcc_lo
	s_delay_alu instid0(VALU_DEP_2) | instskip(NEXT) | instid1(VALU_DEP_2)
	v_add_co_u32 v4, vcc_lo, v4, v11
	v_add_co_ci_u32_e32 v10, vcc_lo, v10, v22, vcc_lo
	s_delay_alu instid0(VALU_DEP_2) | instskip(SKIP_1) | instid1(VALU_DEP_3)
	v_mul_hi_u32 v11, s10, v4
	v_mul_lo_u32 v23, s21, v4
	v_mul_lo_u32 v22, s10, v10
	s_delay_alu instid0(VALU_DEP_1) | instskip(SKIP_1) | instid1(VALU_DEP_2)
	v_add_nc_u32_e32 v11, v11, v22
	v_mul_lo_u32 v22, s10, v4
	v_add_nc_u32_e32 v11, v11, v23
	s_delay_alu instid0(VALU_DEP_2) | instskip(NEXT) | instid1(VALU_DEP_2)
	v_mul_hi_u32 v23, v4, v22
	v_mul_lo_u32 v24, v4, v11
	v_mul_hi_u32 v25, v4, v11
	v_mul_hi_u32 v27, v10, v22
	v_mul_lo_u32 v22, v10, v22
	v_mul_hi_u32 v28, v10, v11
	v_mul_lo_u32 v11, v10, v11
	v_add_co_u32 v23, vcc_lo, v23, v24
	v_add_co_ci_u32_e32 v24, vcc_lo, 0, v25, vcc_lo
	s_delay_alu instid0(VALU_DEP_2) | instskip(NEXT) | instid1(VALU_DEP_2)
	v_add_co_u32 v22, vcc_lo, v23, v22
	v_add_co_ci_u32_e32 v22, vcc_lo, v24, v27, vcc_lo
	v_add_co_ci_u32_e32 v23, vcc_lo, 0, v28, vcc_lo
	v_add_co_u32 v20, vcc_lo, v20, v26
	v_add_co_ci_u32_e32 v21, vcc_lo, v21, v26, vcc_lo
	s_delay_alu instid0(VALU_DEP_4) | instskip(NEXT) | instid1(VALU_DEP_4)
	v_add_co_u32 v11, vcc_lo, v22, v11
	v_add_co_ci_u32_e32 v22, vcc_lo, 0, v23, vcc_lo
	s_delay_alu instid0(VALU_DEP_4) | instskip(NEXT) | instid1(VALU_DEP_3)
	v_xor_b32_e32 v24, v20, v26
	v_add_co_u32 v4, vcc_lo, v4, v11
	s_delay_alu instid0(VALU_DEP_3) | instskip(SKIP_1) | instid1(VALU_DEP_3)
	v_add_co_ci_u32_e32 v25, vcc_lo, v10, v22, vcc_lo
	v_xor_b32_e32 v27, v21, v26
	v_mul_hi_u32 v28, v24, v4
	s_delay_alu instid0(VALU_DEP_3) | instskip(NEXT) | instid1(VALU_DEP_3)
	v_mad_u64_u32 v[10:11], null, v24, v25, 0
	v_mad_u64_u32 v[20:21], null, v27, v4, 0
	;; [unrolled: 1-line block ×3, first 2 shown]
	s_delay_alu instid0(VALU_DEP_3) | instskip(NEXT) | instid1(VALU_DEP_4)
	v_add_co_u32 v4, vcc_lo, v28, v10
	v_add_co_ci_u32_e32 v10, vcc_lo, 0, v11, vcc_lo
	s_delay_alu instid0(VALU_DEP_2) | instskip(NEXT) | instid1(VALU_DEP_2)
	v_add_co_u32 v4, vcc_lo, v4, v20
	v_add_co_ci_u32_e32 v4, vcc_lo, v10, v21, vcc_lo
	v_add_co_ci_u32_e32 v10, vcc_lo, 0, v23, vcc_lo
	s_delay_alu instid0(VALU_DEP_2) | instskip(NEXT) | instid1(VALU_DEP_2)
	v_add_co_u32 v4, vcc_lo, v4, v22
	v_add_co_ci_u32_e32 v20, vcc_lo, 0, v10, vcc_lo
	s_delay_alu instid0(VALU_DEP_2) | instskip(SKIP_1) | instid1(VALU_DEP_3)
	v_mul_lo_u32 v21, s23, v4
	v_mad_u64_u32 v[10:11], null, s22, v4, 0
	v_mul_lo_u32 v22, s22, v20
	s_delay_alu instid0(VALU_DEP_2) | instskip(NEXT) | instid1(VALU_DEP_2)
	v_sub_co_u32 v10, vcc_lo, v24, v10
	v_add3_u32 v11, v11, v22, v21
	s_delay_alu instid0(VALU_DEP_1) | instskip(NEXT) | instid1(VALU_DEP_1)
	v_sub_nc_u32_e32 v21, v27, v11
	v_subrev_co_ci_u32_e64 v21, s10, s23, v21, vcc_lo
	v_add_co_u32 v22, s10, v4, 2
	s_delay_alu instid0(VALU_DEP_1) | instskip(SKIP_3) | instid1(VALU_DEP_3)
	v_add_co_ci_u32_e64 v23, s10, 0, v20, s10
	v_sub_co_u32 v24, s10, v10, s22
	v_sub_co_ci_u32_e32 v11, vcc_lo, v27, v11, vcc_lo
	v_subrev_co_ci_u32_e64 v21, s10, 0, v21, s10
	v_cmp_le_u32_e32 vcc_lo, s22, v24
	s_delay_alu instid0(VALU_DEP_3) | instskip(SKIP_1) | instid1(VALU_DEP_4)
	v_cmp_eq_u32_e64 s10, s23, v11
	v_cndmask_b32_e64 v24, 0, -1, vcc_lo
	v_cmp_le_u32_e32 vcc_lo, s23, v21
	v_cndmask_b32_e64 v25, 0, -1, vcc_lo
	v_cmp_le_u32_e32 vcc_lo, s22, v10
	;; [unrolled: 2-line block ×3, first 2 shown]
	v_cndmask_b32_e64 v27, 0, -1, vcc_lo
	v_cmp_eq_u32_e32 vcc_lo, s23, v21
	s_delay_alu instid0(VALU_DEP_2) | instskip(SKIP_3) | instid1(VALU_DEP_3)
	v_cndmask_b32_e64 v10, v27, v10, s10
	v_cndmask_b32_e32 v21, v25, v24, vcc_lo
	v_add_co_u32 v24, vcc_lo, v4, 1
	v_add_co_ci_u32_e32 v25, vcc_lo, 0, v20, vcc_lo
	v_cmp_ne_u32_e32 vcc_lo, 0, v21
	s_delay_alu instid0(VALU_DEP_3) | instskip(NEXT) | instid1(VALU_DEP_3)
	v_cndmask_b32_e32 v21, v24, v22, vcc_lo
	v_cndmask_b32_e32 v11, v25, v23, vcc_lo
	v_cmp_ne_u32_e32 vcc_lo, 0, v10
	v_xor_b32_e32 v22, s20, v26
	s_delay_alu instid0(VALU_DEP_4) | instskip(NEXT) | instid1(VALU_DEP_4)
	v_cndmask_b32_e32 v4, v4, v21, vcc_lo
	v_cndmask_b32_e32 v10, v20, v11, vcc_lo
                                        ; implicit-def: $vgpr20
	s_delay_alu instid0(VALU_DEP_2) | instskip(NEXT) | instid1(VALU_DEP_2)
	v_xor_b32_e32 v4, v4, v22
	v_xor_b32_e32 v11, v10, v22
	s_delay_alu instid0(VALU_DEP_2) | instskip(NEXT) | instid1(VALU_DEP_2)
	v_sub_co_u32 v10, vcc_lo, v4, v22
	v_sub_co_ci_u32_e32 v11, vcc_lo, v11, v22, vcc_lo
.LBB29_12:                              ;   in Loop: Header=BB29_10 Depth=2
	s_and_not1_saveexec_b32 s10, s26
; %bb.13:                               ;   in Loop: Header=BB29_10 Depth=2
	v_mul_hi_u32 v4, v20, v17
	s_delay_alu instid0(VALU_DEP_1) | instskip(SKIP_1) | instid1(VALU_DEP_2)
	v_mul_lo_u32 v10, v4, s14
	v_add_nc_u32_e32 v11, 1, v4
	v_sub_nc_u32_e32 v10, v20, v10
	s_delay_alu instid0(VALU_DEP_1) | instskip(SKIP_1) | instid1(VALU_DEP_2)
	v_subrev_nc_u32_e32 v20, s14, v10
	v_cmp_le_u32_e32 vcc_lo, s14, v10
	v_cndmask_b32_e32 v10, v10, v20, vcc_lo
	v_cndmask_b32_e32 v4, v4, v11, vcc_lo
	s_delay_alu instid0(VALU_DEP_2) | instskip(NEXT) | instid1(VALU_DEP_2)
	v_cmp_le_u32_e32 vcc_lo, s14, v10
	v_add_nc_u32_e32 v11, 1, v4
	s_delay_alu instid0(VALU_DEP_1)
	v_dual_cndmask_b32 v10, v4, v11 :: v_dual_mov_b32 v11, v3
; %bb.14:                               ;   in Loop: Header=BB29_10 Depth=2
	s_or_b32 exec_lo, exec_lo, s10
	s_delay_alu instid0(VALU_DEP_1)
	v_cmp_eq_u64_e32 vcc_lo, v[10:11], v[5:6]
	s_mov_b32 s21, exec_lo
	v_cmpx_ne_u64_e64 v[10:11], v[5:6]
	s_xor_b32 s21, exec_lo, s21
; %bb.15:                               ;   in Loop: Header=BB29_10 Depth=2
	v_cmp_lt_i64_e64 s10, v[10:11], v[7:8]
                                        ; implicit-def: $vgpr19
	s_delay_alu instid0(VALU_DEP_1)
	v_cndmask_b32_e64 v8, v8, v11, s10
	v_cndmask_b32_e64 v7, v7, v10, s10
; %bb.16:                               ;   in Loop: Header=BB29_10 Depth=2
	s_or_saveexec_b32 s10, s21
	v_mov_b32_e32 v4, v9
	s_xor_b32 exec_lo, exec_lo, s10
	s_cbranch_execz .LBB29_9
; %bb.17:                               ;   in Loop: Header=BB29_10 Depth=2
	v_mov_b32_e32 v4, v19
	ds_store_b8 v3, v18 offset:2056
	s_branch .LBB29_9
.LBB29_18:                              ;   in Loop: Header=BB29_7 Depth=1
	s_or_b32 exec_lo, exec_lo, s25
.LBB29_19:                              ;   in Loop: Header=BB29_7 Depth=1
	s_delay_alu instid0(SALU_CYCLE_1)
	s_or_b32 exec_lo, exec_lo, s24
	ds_bpermute_b32 v5, v14, v4
	s_waitcnt lgkmcnt(0)
	s_barrier
	buffer_gl0_inv
	ds_load_u8 v6, v3 offset:2056
	v_min_i32_e32 v4, v5, v4
	s_waitcnt lgkmcnt(0)
	v_readfirstlane_b32 s10, v6
	ds_bpermute_b32 v5, v15, v4
	s_bitcmp1_b32 s10, 0
	s_cselect_b32 s10, -1, 0
	s_delay_alu instid0(SALU_CYCLE_1)
	s_and_b32 s21, s2, s10
	s_waitcnt lgkmcnt(0)
	v_min_i32_e32 v4, v5, v4
	ds_bpermute_b32 v5, v16, v4
	s_waitcnt lgkmcnt(0)
	v_min_i32_e32 v4, v5, v4
	ds_bpermute_b32 v9, v13, v4
	s_and_saveexec_b32 s10, s21
	s_cbranch_execz .LBB29_21
; %bb.20:                               ;   in Loop: Header=BB29_7 Depth=1
	ds_load_b64 v[4:5], v3 offset:2048
	s_waitcnt lgkmcnt(0)
	v_add_co_u32 v4, vcc_lo, v4, 1
	v_add_co_ci_u32_e32 v5, vcc_lo, 0, v5, vcc_lo
	ds_store_b64 v3, v[4:5] offset:2048
.LBB29_21:                              ;   in Loop: Header=BB29_7 Depth=1
	s_or_b32 exec_lo, exec_lo, s10
	ds_store_b64 v12, v[7:8]
	s_waitcnt lgkmcnt(0)
	s_barrier
	buffer_gl0_inv
	s_and_saveexec_b32 s10, s3
	s_cbranch_execz .LBB29_23
; %bb.22:                               ;   in Loop: Header=BB29_7 Depth=1
	ds_load_2addr_stride64_b64 v[4:7], v12 offset1:2
	s_waitcnt lgkmcnt(0)
	v_cmp_lt_i64_e32 vcc_lo, v[6:7], v[4:5]
	v_dual_cndmask_b32 v5, v5, v7 :: v_dual_cndmask_b32 v4, v4, v6
	ds_store_b64 v12, v[4:5]
.LBB29_23:                              ;   in Loop: Header=BB29_7 Depth=1
	s_or_b32 exec_lo, exec_lo, s10
	s_waitcnt lgkmcnt(0)
	s_barrier
	buffer_gl0_inv
	s_and_saveexec_b32 s10, s4
	s_cbranch_execz .LBB29_25
; %bb.24:                               ;   in Loop: Header=BB29_7 Depth=1
	ds_load_2addr_stride64_b64 v[4:7], v12 offset1:1
	s_waitcnt lgkmcnt(0)
	v_cmp_lt_i64_e32 vcc_lo, v[6:7], v[4:5]
	v_dual_cndmask_b32 v5, v5, v7 :: v_dual_cndmask_b32 v4, v4, v6
	ds_store_b64 v12, v[4:5]
.LBB29_25:                              ;   in Loop: Header=BB29_7 Depth=1
	s_or_b32 exec_lo, exec_lo, s10
	s_waitcnt lgkmcnt(0)
	s_barrier
	buffer_gl0_inv
	s_and_saveexec_b32 s10, s5
	s_cbranch_execz .LBB29_27
; %bb.26:                               ;   in Loop: Header=BB29_7 Depth=1
	ds_load_2addr_b64 v[4:7], v12 offset1:32
	s_waitcnt lgkmcnt(0)
	v_cmp_lt_i64_e32 vcc_lo, v[6:7], v[4:5]
	v_dual_cndmask_b32 v5, v5, v7 :: v_dual_cndmask_b32 v4, v4, v6
	ds_store_b64 v12, v[4:5]
.LBB29_27:                              ;   in Loop: Header=BB29_7 Depth=1
	s_or_b32 exec_lo, exec_lo, s10
	s_waitcnt lgkmcnt(0)
	s_barrier
	buffer_gl0_inv
	s_and_saveexec_b32 s10, s6
	s_cbranch_execz .LBB29_29
; %bb.28:                               ;   in Loop: Header=BB29_7 Depth=1
	ds_load_2addr_b64 v[4:7], v12 offset1:16
	s_waitcnt lgkmcnt(0)
	v_cmp_lt_i64_e32 vcc_lo, v[6:7], v[4:5]
	v_dual_cndmask_b32 v5, v5, v7 :: v_dual_cndmask_b32 v4, v4, v6
	ds_store_b64 v12, v[4:5]
.LBB29_29:                              ;   in Loop: Header=BB29_7 Depth=1
	;; [unrolled: 13-line block ×5, first 2 shown]
	s_or_b32 exec_lo, exec_lo, s10
	s_waitcnt lgkmcnt(0)
	s_barrier
	buffer_gl0_inv
	s_and_saveexec_b32 s10, s2
	s_cbranch_execz .LBB29_6
; %bb.36:                               ;   in Loop: Header=BB29_7 Depth=1
	ds_load_b128 v[4:7], v3
	s_waitcnt lgkmcnt(0)
	v_cmp_lt_i64_e32 vcc_lo, v[6:7], v[4:5]
	v_dual_cndmask_b32 v5, v5, v7 :: v_dual_cndmask_b32 v4, v4, v6
	ds_store_b64 v3, v[4:5]
	s_branch .LBB29_6
.LBB29_37:
	s_mov_b32 s2, exec_lo
	v_cmpx_eq_u32_e32 0, v0
	s_cbranch_execz .LBB29_39
; %bb.38:
	s_load_b32 s2, s[0:1], 0x40
	v_mov_b32_e32 v0, 0
	s_load_b64 s[0:1], s[0:1], 0x48
	ds_load_b32 v1, v0 offset:2048
	s_waitcnt lgkmcnt(0)
	v_mov_b32_e32 v2, s2
	s_lshl_b64 s[2:3], s[16:17], 2
	s_delay_alu instid0(SALU_CYCLE_1)
	s_add_u32 s2, s0, s2
	s_addc_u32 s3, s1, s3
	s_clause 0x1
	global_store_b32 v0, v2, s[0:1]
	global_store_b32 v0, v1, s[2:3] offset:4
.LBB29_39:
	s_nop 0
	s_sendmsg sendmsg(MSG_DEALLOC_VGPRS)
	s_endpgm
	.section	.rodata,"a",@progbits
	.p2align	6, 0x0
	.amdhsa_kernel _ZN9rocsparseL42csr2bsr_nnz_block_per_row_multipass_kernelILj256ELj32EilEEvT2_S1_S1_S1_S1_21rocsparse_index_base_PKT1_PKS1_S2_PS3_
		.amdhsa_group_segment_fixed_size 2064
		.amdhsa_private_segment_fixed_size 0
		.amdhsa_kernarg_size 80
		.amdhsa_user_sgpr_count 15
		.amdhsa_user_sgpr_dispatch_ptr 0
		.amdhsa_user_sgpr_queue_ptr 0
		.amdhsa_user_sgpr_kernarg_segment_ptr 1
		.amdhsa_user_sgpr_dispatch_id 0
		.amdhsa_user_sgpr_private_segment_size 0
		.amdhsa_wavefront_size32 1
		.amdhsa_uses_dynamic_stack 0
		.amdhsa_enable_private_segment 0
		.amdhsa_system_sgpr_workgroup_id_x 1
		.amdhsa_system_sgpr_workgroup_id_y 0
		.amdhsa_system_sgpr_workgroup_id_z 0
		.amdhsa_system_sgpr_workgroup_info 0
		.amdhsa_system_vgpr_workitem_id 0
		.amdhsa_next_free_vgpr 29
		.amdhsa_next_free_sgpr 27
		.amdhsa_reserve_vcc 1
		.amdhsa_float_round_mode_32 0
		.amdhsa_float_round_mode_16_64 0
		.amdhsa_float_denorm_mode_32 3
		.amdhsa_float_denorm_mode_16_64 3
		.amdhsa_dx10_clamp 1
		.amdhsa_ieee_mode 1
		.amdhsa_fp16_overflow 0
		.amdhsa_workgroup_processor_mode 1
		.amdhsa_memory_ordered 1
		.amdhsa_forward_progress 0
		.amdhsa_shared_vgpr_count 0
		.amdhsa_exception_fp_ieee_invalid_op 0
		.amdhsa_exception_fp_denorm_src 0
		.amdhsa_exception_fp_ieee_div_zero 0
		.amdhsa_exception_fp_ieee_overflow 0
		.amdhsa_exception_fp_ieee_underflow 0
		.amdhsa_exception_fp_ieee_inexact 0
		.amdhsa_exception_int_div_zero 0
	.end_amdhsa_kernel
	.section	.text._ZN9rocsparseL42csr2bsr_nnz_block_per_row_multipass_kernelILj256ELj32EilEEvT2_S1_S1_S1_S1_21rocsparse_index_base_PKT1_PKS1_S2_PS3_,"axG",@progbits,_ZN9rocsparseL42csr2bsr_nnz_block_per_row_multipass_kernelILj256ELj32EilEEvT2_S1_S1_S1_S1_21rocsparse_index_base_PKT1_PKS1_S2_PS3_,comdat
.Lfunc_end29:
	.size	_ZN9rocsparseL42csr2bsr_nnz_block_per_row_multipass_kernelILj256ELj32EilEEvT2_S1_S1_S1_S1_21rocsparse_index_base_PKT1_PKS1_S2_PS3_, .Lfunc_end29-_ZN9rocsparseL42csr2bsr_nnz_block_per_row_multipass_kernelILj256ELj32EilEEvT2_S1_S1_S1_S1_21rocsparse_index_base_PKT1_PKS1_S2_PS3_
                                        ; -- End function
	.section	.AMDGPU.csdata,"",@progbits
; Kernel info:
; codeLenInByte = 2492
; NumSgprs: 29
; NumVgprs: 29
; ScratchSize: 0
; MemoryBound: 0
; FloatMode: 240
; IeeeMode: 1
; LDSByteSize: 2064 bytes/workgroup (compile time only)
; SGPRBlocks: 3
; VGPRBlocks: 3
; NumSGPRsForWavesPerEU: 29
; NumVGPRsForWavesPerEU: 29
; Occupancy: 16
; WaveLimiterHint : 0
; COMPUTE_PGM_RSRC2:SCRATCH_EN: 0
; COMPUTE_PGM_RSRC2:USER_SGPR: 15
; COMPUTE_PGM_RSRC2:TRAP_HANDLER: 0
; COMPUTE_PGM_RSRC2:TGID_X_EN: 1
; COMPUTE_PGM_RSRC2:TGID_Y_EN: 0
; COMPUTE_PGM_RSRC2:TGID_Z_EN: 0
; COMPUTE_PGM_RSRC2:TIDIG_COMP_CNT: 0
	.section	.text._ZN9rocsparseL42csr2bsr_nnz_block_per_row_multipass_kernelILj256ELj64EilEEvT2_S1_S1_S1_S1_21rocsparse_index_base_PKT1_PKS1_S2_PS3_,"axG",@progbits,_ZN9rocsparseL42csr2bsr_nnz_block_per_row_multipass_kernelILj256ELj64EilEEvT2_S1_S1_S1_S1_21rocsparse_index_base_PKT1_PKS1_S2_PS3_,comdat
	.globl	_ZN9rocsparseL42csr2bsr_nnz_block_per_row_multipass_kernelILj256ELj64EilEEvT2_S1_S1_S1_S1_21rocsparse_index_base_PKT1_PKS1_S2_PS3_ ; -- Begin function _ZN9rocsparseL42csr2bsr_nnz_block_per_row_multipass_kernelILj256ELj64EilEEvT2_S1_S1_S1_S1_21rocsparse_index_base_PKT1_PKS1_S2_PS3_
	.p2align	8
	.type	_ZN9rocsparseL42csr2bsr_nnz_block_per_row_multipass_kernelILj256ELj64EilEEvT2_S1_S1_S1_S1_21rocsparse_index_base_PKT1_PKS1_S2_PS3_,@function
_ZN9rocsparseL42csr2bsr_nnz_block_per_row_multipass_kernelILj256ELj64EilEEvT2_S1_S1_S1_S1_21rocsparse_index_base_PKT1_PKS1_S2_PS3_: ; @_ZN9rocsparseL42csr2bsr_nnz_block_per_row_multipass_kernelILj256ELj64EilEEvT2_S1_S1_S1_S1_21rocsparse_index_base_PKT1_PKS1_S2_PS3_
; %bb.0:
	s_mov_b32 s16, s15
	s_clause 0x1
	s_load_b128 s[12:15], s[0:1], 0x18
	s_load_b64 s[2:3], s[0:1], 0x0
	v_dual_mov_b32 v2, 0 :: v_dual_mov_b32 v9, 0
	v_lshrrev_b32_e32 v1, 2, v0
	s_clause 0x1
	s_load_b32 s11, s[0:1], 0x28
	s_load_b64 s[4:5], s[0:1], 0x30
	s_ashr_i32 s17, s16, 31
	v_mov_b32_e32 v5, v2
	v_mov_b32_e32 v6, v2
	ds_store_b64 v2, v[5:6] offset:2048
	s_waitcnt lgkmcnt(0)
	s_barrier
	buffer_gl0_inv
	v_mad_u64_u32 v[3:4], null, s16, s14, v[1:2]
	s_mul_i32 s6, s16, s15
	s_mul_i32 s7, s17, s14
	s_delay_alu instid0(VALU_DEP_1) | instid1(SALU_CYCLE_1)
	v_add3_u32 v4, s6, s7, v4
	s_delay_alu instid0(VALU_DEP_1) | instskip(SKIP_1) | instid1(VALU_DEP_1)
	v_cmp_gt_i64_e32 vcc_lo, s[2:3], v[3:4]
	v_cmp_gt_i64_e64 s2, s[14:15], v[1:2]
	s_and_b32 s2, s2, vcc_lo
	s_delay_alu instid0(SALU_CYCLE_1)
	s_and_saveexec_b32 s3, s2
	s_cbranch_execz .LBB30_2
; %bb.1:
	v_lshlrev_b64 v[5:6], 2, v[3:4]
	s_delay_alu instid0(VALU_DEP_1) | instskip(NEXT) | instid1(VALU_DEP_2)
	v_add_co_u32 v5, vcc_lo, s4, v5
	v_add_co_ci_u32_e32 v6, vcc_lo, s5, v6, vcc_lo
	global_load_b32 v1, v[5:6], off
	s_waitcnt vmcnt(0)
	v_subrev_nc_u32_e32 v9, s11, v1
.LBB30_2:
	s_or_b32 exec_lo, exec_lo, s3
	s_and_saveexec_b32 s3, s2
	s_cbranch_execz .LBB30_4
; %bb.3:
	v_lshlrev_b64 v[1:2], 2, v[3:4]
	s_delay_alu instid0(VALU_DEP_1) | instskip(NEXT) | instid1(VALU_DEP_2)
	v_add_co_u32 v1, vcc_lo, s4, v1
	v_add_co_ci_u32_e32 v2, vcc_lo, s5, v2, vcc_lo
	global_load_b32 v1, v[1:2], off offset:4
	s_waitcnt vmcnt(0)
	v_subrev_nc_u32_e32 v2, s11, v1
.LBB30_4:
	s_or_b32 exec_lo, exec_lo, s3
	v_cmp_lt_i64_e64 s2, s[12:13], 1
	s_delay_alu instid0(VALU_DEP_1)
	s_and_b32 vcc_lo, exec_lo, s2
	v_cmp_eq_u32_e64 s2, 0, v0
	s_cbranch_vccnz .LBB30_37
; %bb.5:
	v_cvt_f32_u32_e32 v1, s14
	v_mbcnt_lo_u32_b32 v4, -1, 0
	s_sub_i32 s7, 0, s14
	s_load_b64 s[18:19], s[0:1], 0x38
	v_cmp_gt_u32_e64 s3, 0x80, v0
	v_rcp_iflag_f32_e32 v1, v1
	v_xor_b32_e32 v6, 2, v4
	v_xor_b32_e32 v7, 1, v4
	v_cmp_gt_u32_e64 s4, 64, v0
	v_cmp_gt_u32_e64 s5, 32, v0
	;; [unrolled: 1-line block ×3, first 2 shown]
	v_cmp_gt_i32_e32 vcc_lo, 32, v6
	v_cmp_gt_u32_e64 s8, 4, v0
	v_cmp_gt_u32_e64 s9, 2, v0
	v_lshl_or_b32 v13, v4, 2, 12
	v_dual_mul_f32 v3, 0x4f7ffffe, v1 :: v_dual_lshlrev_b32 v12, 3, v0
	v_dual_cndmask_b32 v6, v4, v6 :: v_dual_and_b32 v1, 3, v0
	v_cmp_gt_i32_e32 vcc_lo, 32, v7
	s_delay_alu instid0(VALU_DEP_3) | instskip(SKIP_3) | instid1(VALU_DEP_3)
	v_cvt_u32_f32_e32 v5, v3
	v_mov_b32_e32 v17, 1
	s_ashr_i32 s20, s15, 31
	v_dual_cndmask_b32 v11, v4, v7 :: v_dual_lshlrev_b32 v14, 2, v6
	v_mul_lo_u32 v3, s7, v5
	v_mov_b32_e32 v7, 0
	v_cmp_gt_u32_e64 s7, 8, v0
	s_delay_alu instid0(VALU_DEP_4) | instskip(NEXT) | instid1(VALU_DEP_4)
	v_dual_mov_b32 v8, 0 :: v_dual_lshlrev_b32 v15, 2, v11
	v_mul_hi_u32 v10, v5, v3
	s_delay_alu instid0(VALU_DEP_1)
	v_dual_mov_b32 v3, 0 :: v_dual_add_nc_u32 v16, v5, v10
	s_branch .LBB30_7
.LBB30_6:                               ;   in Loop: Header=BB30_7 Depth=1
	s_or_b32 exec_lo, exec_lo, s10
	s_waitcnt lgkmcnt(0)
	s_barrier
	buffer_gl0_inv
	ds_load_b32 v7, v3
	s_waitcnt lgkmcnt(0)
	s_barrier
	buffer_gl0_inv
	v_ashrrev_i32_e32 v8, 31, v7
	s_delay_alu instid0(VALU_DEP_1)
	v_cmp_gt_i64_e32 vcc_lo, s[12:13], v[7:8]
	s_cbranch_vccz .LBB30_37
.LBB30_7:                               ; =>This Loop Header: Depth=1
                                        ;     Child Loop BB30_10 Depth 2
	v_dual_mov_b32 v5, s12 :: v_dual_mov_b32 v4, v2
	v_dual_mov_b32 v6, s13 :: v_dual_add_nc_u32 v9, v9, v1
	s_mov_b32 s24, exec_lo
	ds_store_b8 v3, v3 offset:2056
	s_waitcnt lgkmcnt(0)
	s_barrier
	buffer_gl0_inv
	v_cmpx_lt_i32_e64 v9, v2
	s_cbranch_execz .LBB30_19
; %bb.8:                                ;   in Loop: Header=BB30_7 Depth=1
	v_dual_mov_b32 v5, s12 :: v_dual_mov_b32 v6, s13
	v_mov_b32_e32 v18, v2
	s_mov_b32 s25, 0
	s_branch .LBB30_10
.LBB30_9:                               ;   in Loop: Header=BB30_10 Depth=2
	s_or_b32 exec_lo, exec_lo, s10
	s_delay_alu instid0(VALU_DEP_1) | instskip(SKIP_1) | instid1(VALU_DEP_1)
	v_dual_mov_b32 v18, v4 :: v_dual_add_nc_u32 v9, 4, v9
	s_xor_b32 s21, vcc_lo, -1
	v_cmp_ge_i32_e64 s10, v9, v2
	s_delay_alu instid0(VALU_DEP_1) | instskip(NEXT) | instid1(SALU_CYCLE_1)
	s_or_b32 s10, s21, s10
	s_and_b32 s10, exec_lo, s10
	s_delay_alu instid0(SALU_CYCLE_1) | instskip(NEXT) | instid1(SALU_CYCLE_1)
	s_or_b32 s25, s10, s25
	s_and_not1_b32 exec_lo, exec_lo, s25
	s_cbranch_execz .LBB30_18
.LBB30_10:                              ;   Parent Loop BB30_7 Depth=1
                                        ; =>  This Inner Loop Header: Depth=2
	v_ashrrev_i32_e32 v10, 31, v9
	s_mov_b32 s10, exec_lo
	s_delay_alu instid0(VALU_DEP_1) | instskip(NEXT) | instid1(VALU_DEP_1)
	v_lshlrev_b64 v[10:11], 3, v[9:10]
	v_add_co_u32 v10, vcc_lo, s18, v10
	s_delay_alu instid0(VALU_DEP_2) | instskip(SKIP_4) | instid1(VALU_DEP_1)
	v_add_co_ci_u32_e32 v11, vcc_lo, s19, v11, vcc_lo
	global_load_b64 v[10:11], v[10:11], off
	s_waitcnt vmcnt(0)
	v_sub_co_u32 v19, vcc_lo, v10, s11
	v_subrev_co_ci_u32_e32 v20, vcc_lo, 0, v11, vcc_lo
                                        ; implicit-def: $vgpr10_vgpr11
	v_or_b32_e32 v4, s15, v20
	s_delay_alu instid0(VALU_DEP_1)
	v_cmpx_ne_u64_e32 0, v[3:4]
	s_xor_b32 s26, exec_lo, s10
	s_cbranch_execz .LBB30_12
; %bb.11:                               ;   in Loop: Header=BB30_10 Depth=2
	s_add_u32 s22, s14, s20
	s_mov_b32 s21, s20
	s_addc_u32 s23, s15, s20
	s_delay_alu instid0(SALU_CYCLE_1) | instskip(NEXT) | instid1(SALU_CYCLE_1)
	s_xor_b64 s[22:23], s[22:23], s[20:21]
	v_cvt_f32_u32_e32 v4, s22
	v_cvt_f32_u32_e32 v10, s23
	s_sub_u32 s10, 0, s22
	s_subb_u32 s21, 0, s23
	s_delay_alu instid0(VALU_DEP_1) | instskip(NEXT) | instid1(VALU_DEP_1)
	v_fmac_f32_e32 v4, 0x4f800000, v10
	v_rcp_f32_e32 v4, v4
	s_waitcnt_depctr 0xfff
	v_mul_f32_e32 v4, 0x5f7ffffc, v4
	s_delay_alu instid0(VALU_DEP_1) | instskip(NEXT) | instid1(VALU_DEP_1)
	v_mul_f32_e32 v10, 0x2f800000, v4
	v_trunc_f32_e32 v10, v10
	s_delay_alu instid0(VALU_DEP_1) | instskip(SKIP_1) | instid1(VALU_DEP_2)
	v_fmac_f32_e32 v4, 0xcf800000, v10
	v_cvt_u32_f32_e32 v10, v10
	v_cvt_u32_f32_e32 v4, v4
	s_delay_alu instid0(VALU_DEP_2) | instskip(NEXT) | instid1(VALU_DEP_2)
	v_mul_lo_u32 v11, s10, v10
	v_mul_hi_u32 v21, s10, v4
	v_mul_lo_u32 v22, s21, v4
	s_delay_alu instid0(VALU_DEP_2) | instskip(SKIP_1) | instid1(VALU_DEP_2)
	v_add_nc_u32_e32 v11, v21, v11
	v_mul_lo_u32 v21, s10, v4
	v_add_nc_u32_e32 v11, v11, v22
	s_delay_alu instid0(VALU_DEP_2) | instskip(NEXT) | instid1(VALU_DEP_2)
	v_mul_hi_u32 v22, v4, v21
	v_mul_lo_u32 v23, v4, v11
	v_mul_hi_u32 v24, v4, v11
	v_mul_hi_u32 v25, v10, v21
	v_mul_lo_u32 v21, v10, v21
	v_mul_hi_u32 v26, v10, v11
	v_mul_lo_u32 v11, v10, v11
	v_add_co_u32 v22, vcc_lo, v22, v23
	v_add_co_ci_u32_e32 v23, vcc_lo, 0, v24, vcc_lo
	s_delay_alu instid0(VALU_DEP_2) | instskip(NEXT) | instid1(VALU_DEP_2)
	v_add_co_u32 v21, vcc_lo, v22, v21
	v_add_co_ci_u32_e32 v21, vcc_lo, v23, v25, vcc_lo
	v_add_co_ci_u32_e32 v22, vcc_lo, 0, v26, vcc_lo
	v_ashrrev_i32_e32 v25, 31, v20
	s_delay_alu instid0(VALU_DEP_3) | instskip(NEXT) | instid1(VALU_DEP_3)
	v_add_co_u32 v11, vcc_lo, v21, v11
	v_add_co_ci_u32_e32 v21, vcc_lo, 0, v22, vcc_lo
	s_delay_alu instid0(VALU_DEP_2) | instskip(NEXT) | instid1(VALU_DEP_2)
	v_add_co_u32 v4, vcc_lo, v4, v11
	v_add_co_ci_u32_e32 v10, vcc_lo, v10, v21, vcc_lo
	s_delay_alu instid0(VALU_DEP_2) | instskip(SKIP_1) | instid1(VALU_DEP_3)
	v_mul_hi_u32 v11, s10, v4
	v_mul_lo_u32 v22, s21, v4
	v_mul_lo_u32 v21, s10, v10
	s_delay_alu instid0(VALU_DEP_1) | instskip(SKIP_1) | instid1(VALU_DEP_2)
	v_add_nc_u32_e32 v11, v11, v21
	v_mul_lo_u32 v21, s10, v4
	v_add_nc_u32_e32 v11, v11, v22
	s_delay_alu instid0(VALU_DEP_2) | instskip(NEXT) | instid1(VALU_DEP_2)
	v_mul_hi_u32 v22, v4, v21
	v_mul_lo_u32 v23, v4, v11
	v_mul_hi_u32 v24, v4, v11
	v_mul_hi_u32 v26, v10, v21
	v_mul_lo_u32 v21, v10, v21
	v_mul_hi_u32 v27, v10, v11
	v_mul_lo_u32 v11, v10, v11
	v_add_co_u32 v22, vcc_lo, v22, v23
	v_add_co_ci_u32_e32 v23, vcc_lo, 0, v24, vcc_lo
	s_delay_alu instid0(VALU_DEP_2) | instskip(NEXT) | instid1(VALU_DEP_2)
	v_add_co_u32 v21, vcc_lo, v22, v21
	v_add_co_ci_u32_e32 v21, vcc_lo, v23, v26, vcc_lo
	v_add_co_ci_u32_e32 v22, vcc_lo, 0, v27, vcc_lo
	v_add_co_u32 v19, vcc_lo, v19, v25
	v_add_co_ci_u32_e32 v20, vcc_lo, v20, v25, vcc_lo
	s_delay_alu instid0(VALU_DEP_4) | instskip(NEXT) | instid1(VALU_DEP_4)
	v_add_co_u32 v11, vcc_lo, v21, v11
	v_add_co_ci_u32_e32 v21, vcc_lo, 0, v22, vcc_lo
	s_delay_alu instid0(VALU_DEP_4) | instskip(NEXT) | instid1(VALU_DEP_3)
	v_xor_b32_e32 v23, v19, v25
	v_add_co_u32 v4, vcc_lo, v4, v11
	s_delay_alu instid0(VALU_DEP_3) | instskip(SKIP_1) | instid1(VALU_DEP_3)
	v_add_co_ci_u32_e32 v24, vcc_lo, v10, v21, vcc_lo
	v_xor_b32_e32 v26, v20, v25
	v_mul_hi_u32 v27, v23, v4
	s_delay_alu instid0(VALU_DEP_3) | instskip(NEXT) | instid1(VALU_DEP_3)
	v_mad_u64_u32 v[10:11], null, v23, v24, 0
	v_mad_u64_u32 v[19:20], null, v26, v4, 0
	;; [unrolled: 1-line block ×3, first 2 shown]
	s_delay_alu instid0(VALU_DEP_3) | instskip(NEXT) | instid1(VALU_DEP_4)
	v_add_co_u32 v4, vcc_lo, v27, v10
	v_add_co_ci_u32_e32 v10, vcc_lo, 0, v11, vcc_lo
	s_delay_alu instid0(VALU_DEP_2) | instskip(NEXT) | instid1(VALU_DEP_2)
	v_add_co_u32 v4, vcc_lo, v4, v19
	v_add_co_ci_u32_e32 v4, vcc_lo, v10, v20, vcc_lo
	v_add_co_ci_u32_e32 v10, vcc_lo, 0, v22, vcc_lo
	s_delay_alu instid0(VALU_DEP_2) | instskip(NEXT) | instid1(VALU_DEP_2)
	v_add_co_u32 v4, vcc_lo, v4, v21
	v_add_co_ci_u32_e32 v19, vcc_lo, 0, v10, vcc_lo
	s_delay_alu instid0(VALU_DEP_2) | instskip(SKIP_1) | instid1(VALU_DEP_3)
	v_mul_lo_u32 v20, s23, v4
	v_mad_u64_u32 v[10:11], null, s22, v4, 0
	v_mul_lo_u32 v21, s22, v19
	s_delay_alu instid0(VALU_DEP_2) | instskip(NEXT) | instid1(VALU_DEP_2)
	v_sub_co_u32 v10, vcc_lo, v23, v10
	v_add3_u32 v11, v11, v21, v20
	s_delay_alu instid0(VALU_DEP_1) | instskip(NEXT) | instid1(VALU_DEP_1)
	v_sub_nc_u32_e32 v20, v26, v11
	v_subrev_co_ci_u32_e64 v20, s10, s23, v20, vcc_lo
	v_add_co_u32 v21, s10, v4, 2
	s_delay_alu instid0(VALU_DEP_1) | instskip(SKIP_3) | instid1(VALU_DEP_3)
	v_add_co_ci_u32_e64 v22, s10, 0, v19, s10
	v_sub_co_u32 v23, s10, v10, s22
	v_sub_co_ci_u32_e32 v11, vcc_lo, v26, v11, vcc_lo
	v_subrev_co_ci_u32_e64 v20, s10, 0, v20, s10
	v_cmp_le_u32_e32 vcc_lo, s22, v23
	s_delay_alu instid0(VALU_DEP_3) | instskip(SKIP_1) | instid1(VALU_DEP_4)
	v_cmp_eq_u32_e64 s10, s23, v11
	v_cndmask_b32_e64 v23, 0, -1, vcc_lo
	v_cmp_le_u32_e32 vcc_lo, s23, v20
	v_cndmask_b32_e64 v24, 0, -1, vcc_lo
	v_cmp_le_u32_e32 vcc_lo, s22, v10
	;; [unrolled: 2-line block ×3, first 2 shown]
	v_cndmask_b32_e64 v26, 0, -1, vcc_lo
	v_cmp_eq_u32_e32 vcc_lo, s23, v20
	s_delay_alu instid0(VALU_DEP_2) | instskip(SKIP_3) | instid1(VALU_DEP_3)
	v_cndmask_b32_e64 v10, v26, v10, s10
	v_cndmask_b32_e32 v20, v24, v23, vcc_lo
	v_add_co_u32 v23, vcc_lo, v4, 1
	v_add_co_ci_u32_e32 v24, vcc_lo, 0, v19, vcc_lo
	v_cmp_ne_u32_e32 vcc_lo, 0, v20
	s_delay_alu instid0(VALU_DEP_2) | instskip(SKIP_2) | instid1(VALU_DEP_3)
	v_dual_cndmask_b32 v11, v24, v22 :: v_dual_cndmask_b32 v20, v23, v21
	v_cmp_ne_u32_e32 vcc_lo, 0, v10
	v_xor_b32_e32 v21, s20, v25
	v_cndmask_b32_e32 v4, v4, v20, vcc_lo
	s_delay_alu instid0(VALU_DEP_4) | instskip(NEXT) | instid1(VALU_DEP_2)
	v_cndmask_b32_e32 v10, v19, v11, vcc_lo
                                        ; implicit-def: $vgpr19
	v_xor_b32_e32 v4, v4, v21
	s_delay_alu instid0(VALU_DEP_2) | instskip(NEXT) | instid1(VALU_DEP_2)
	v_xor_b32_e32 v11, v10, v21
	v_sub_co_u32 v10, vcc_lo, v4, v21
	s_delay_alu instid0(VALU_DEP_2)
	v_sub_co_ci_u32_e32 v11, vcc_lo, v11, v21, vcc_lo
.LBB30_12:                              ;   in Loop: Header=BB30_10 Depth=2
	s_and_not1_saveexec_b32 s10, s26
; %bb.13:                               ;   in Loop: Header=BB30_10 Depth=2
	v_mul_hi_u32 v4, v19, v16
	s_delay_alu instid0(VALU_DEP_1) | instskip(NEXT) | instid1(VALU_DEP_1)
	v_mul_lo_u32 v10, v4, s14
	v_sub_nc_u32_e32 v10, v19, v10
	s_delay_alu instid0(VALU_DEP_1) | instskip(SKIP_1) | instid1(VALU_DEP_2)
	v_subrev_nc_u32_e32 v19, s14, v10
	v_cmp_le_u32_e32 vcc_lo, s14, v10
	v_dual_cndmask_b32 v10, v10, v19 :: v_dual_add_nc_u32 v11, 1, v4
	s_delay_alu instid0(VALU_DEP_1) | instskip(NEXT) | instid1(VALU_DEP_2)
	v_cndmask_b32_e32 v4, v4, v11, vcc_lo
	v_cmp_le_u32_e32 vcc_lo, s14, v10
	s_delay_alu instid0(VALU_DEP_2) | instskip(NEXT) | instid1(VALU_DEP_1)
	v_add_nc_u32_e32 v11, 1, v4
	v_dual_cndmask_b32 v10, v4, v11 :: v_dual_mov_b32 v11, v3
; %bb.14:                               ;   in Loop: Header=BB30_10 Depth=2
	s_or_b32 exec_lo, exec_lo, s10
	s_delay_alu instid0(VALU_DEP_1)
	v_cmp_eq_u64_e32 vcc_lo, v[10:11], v[7:8]
	s_mov_b32 s21, exec_lo
	v_cmpx_ne_u64_e64 v[10:11], v[7:8]
	s_xor_b32 s21, exec_lo, s21
; %bb.15:                               ;   in Loop: Header=BB30_10 Depth=2
	v_cmp_lt_i64_e64 s10, v[10:11], v[5:6]
                                        ; implicit-def: $vgpr18
	s_delay_alu instid0(VALU_DEP_1)
	v_cndmask_b32_e64 v6, v6, v11, s10
	v_cndmask_b32_e64 v5, v5, v10, s10
; %bb.16:                               ;   in Loop: Header=BB30_10 Depth=2
	s_or_saveexec_b32 s10, s21
	v_mov_b32_e32 v4, v9
	s_xor_b32 exec_lo, exec_lo, s10
	s_cbranch_execz .LBB30_9
; %bb.17:                               ;   in Loop: Header=BB30_10 Depth=2
	v_mov_b32_e32 v4, v18
	ds_store_b8 v3, v17 offset:2056
	s_branch .LBB30_9
.LBB30_18:                              ;   in Loop: Header=BB30_7 Depth=1
	s_or_b32 exec_lo, exec_lo, s25
.LBB30_19:                              ;   in Loop: Header=BB30_7 Depth=1
	s_delay_alu instid0(SALU_CYCLE_1)
	s_or_b32 exec_lo, exec_lo, s24
	ds_bpermute_b32 v7, v14, v4
	s_waitcnt lgkmcnt(0)
	s_barrier
	buffer_gl0_inv
	ds_load_u8 v8, v3 offset:2056
	v_min_i32_e32 v4, v7, v4
	s_waitcnt lgkmcnt(0)
	v_readfirstlane_b32 s10, v8
	ds_bpermute_b32 v7, v15, v4
	s_bitcmp1_b32 s10, 0
	s_cselect_b32 s10, -1, 0
	s_delay_alu instid0(SALU_CYCLE_1)
	s_and_b32 s21, s2, s10
	s_waitcnt lgkmcnt(0)
	v_min_i32_e32 v4, v7, v4
	ds_bpermute_b32 v9, v13, v4
	s_and_saveexec_b32 s10, s21
	s_cbranch_execz .LBB30_21
; %bb.20:                               ;   in Loop: Header=BB30_7 Depth=1
	ds_load_b64 v[7:8], v3 offset:2048
	s_waitcnt lgkmcnt(0)
	v_add_co_u32 v7, vcc_lo, v7, 1
	v_add_co_ci_u32_e32 v8, vcc_lo, 0, v8, vcc_lo
	ds_store_b64 v3, v[7:8] offset:2048
.LBB30_21:                              ;   in Loop: Header=BB30_7 Depth=1
	s_or_b32 exec_lo, exec_lo, s10
	ds_store_b64 v12, v[5:6]
	s_waitcnt lgkmcnt(0)
	s_barrier
	buffer_gl0_inv
	s_and_saveexec_b32 s10, s3
	s_cbranch_execz .LBB30_23
; %bb.22:                               ;   in Loop: Header=BB30_7 Depth=1
	ds_load_2addr_stride64_b64 v[4:7], v12 offset1:2
	s_waitcnt lgkmcnt(0)
	v_cmp_lt_i64_e32 vcc_lo, v[6:7], v[4:5]
	v_dual_cndmask_b32 v5, v5, v7 :: v_dual_cndmask_b32 v4, v4, v6
	ds_store_b64 v12, v[4:5]
.LBB30_23:                              ;   in Loop: Header=BB30_7 Depth=1
	s_or_b32 exec_lo, exec_lo, s10
	s_waitcnt lgkmcnt(0)
	s_barrier
	buffer_gl0_inv
	s_and_saveexec_b32 s10, s4
	s_cbranch_execz .LBB30_25
; %bb.24:                               ;   in Loop: Header=BB30_7 Depth=1
	ds_load_2addr_stride64_b64 v[4:7], v12 offset1:1
	s_waitcnt lgkmcnt(0)
	v_cmp_lt_i64_e32 vcc_lo, v[6:7], v[4:5]
	v_dual_cndmask_b32 v5, v5, v7 :: v_dual_cndmask_b32 v4, v4, v6
	ds_store_b64 v12, v[4:5]
.LBB30_25:                              ;   in Loop: Header=BB30_7 Depth=1
	s_or_b32 exec_lo, exec_lo, s10
	s_waitcnt lgkmcnt(0)
	s_barrier
	buffer_gl0_inv
	s_and_saveexec_b32 s10, s5
	s_cbranch_execz .LBB30_27
; %bb.26:                               ;   in Loop: Header=BB30_7 Depth=1
	ds_load_2addr_b64 v[4:7], v12 offset1:32
	s_waitcnt lgkmcnt(0)
	v_cmp_lt_i64_e32 vcc_lo, v[6:7], v[4:5]
	v_dual_cndmask_b32 v5, v5, v7 :: v_dual_cndmask_b32 v4, v4, v6
	ds_store_b64 v12, v[4:5]
.LBB30_27:                              ;   in Loop: Header=BB30_7 Depth=1
	s_or_b32 exec_lo, exec_lo, s10
	s_waitcnt lgkmcnt(0)
	s_barrier
	buffer_gl0_inv
	s_and_saveexec_b32 s10, s6
	s_cbranch_execz .LBB30_29
; %bb.28:                               ;   in Loop: Header=BB30_7 Depth=1
	ds_load_2addr_b64 v[4:7], v12 offset1:16
	s_waitcnt lgkmcnt(0)
	v_cmp_lt_i64_e32 vcc_lo, v[6:7], v[4:5]
	v_dual_cndmask_b32 v5, v5, v7 :: v_dual_cndmask_b32 v4, v4, v6
	ds_store_b64 v12, v[4:5]
.LBB30_29:                              ;   in Loop: Header=BB30_7 Depth=1
	s_or_b32 exec_lo, exec_lo, s10
	s_waitcnt lgkmcnt(0)
	s_barrier
	buffer_gl0_inv
	s_and_saveexec_b32 s10, s7
	s_cbranch_execz .LBB30_31
; %bb.30:                               ;   in Loop: Header=BB30_7 Depth=1
	ds_load_2addr_b64 v[4:7], v12 offset1:8
	s_waitcnt lgkmcnt(0)
	v_cmp_lt_i64_e32 vcc_lo, v[6:7], v[4:5]
	v_dual_cndmask_b32 v5, v5, v7 :: v_dual_cndmask_b32 v4, v4, v6
	ds_store_b64 v12, v[4:5]
.LBB30_31:                              ;   in Loop: Header=BB30_7 Depth=1
	s_or_b32 exec_lo, exec_lo, s10
	s_waitcnt lgkmcnt(0)
	s_barrier
	buffer_gl0_inv
	s_and_saveexec_b32 s10, s8
	s_cbranch_execz .LBB30_33
; %bb.32:                               ;   in Loop: Header=BB30_7 Depth=1
	ds_load_2addr_b64 v[4:7], v12 offset1:4
	s_waitcnt lgkmcnt(0)
	v_cmp_lt_i64_e32 vcc_lo, v[6:7], v[4:5]
	v_dual_cndmask_b32 v5, v5, v7 :: v_dual_cndmask_b32 v4, v4, v6
	ds_store_b64 v12, v[4:5]
.LBB30_33:                              ;   in Loop: Header=BB30_7 Depth=1
	s_or_b32 exec_lo, exec_lo, s10
	s_waitcnt lgkmcnt(0)
	s_barrier
	buffer_gl0_inv
	s_and_saveexec_b32 s10, s9
	s_cbranch_execz .LBB30_35
; %bb.34:                               ;   in Loop: Header=BB30_7 Depth=1
	ds_load_2addr_b64 v[4:7], v12 offset1:2
	s_waitcnt lgkmcnt(0)
	v_cmp_lt_i64_e32 vcc_lo, v[6:7], v[4:5]
	v_dual_cndmask_b32 v5, v5, v7 :: v_dual_cndmask_b32 v4, v4, v6
	ds_store_b64 v12, v[4:5]
.LBB30_35:                              ;   in Loop: Header=BB30_7 Depth=1
	s_or_b32 exec_lo, exec_lo, s10
	s_waitcnt lgkmcnt(0)
	s_barrier
	buffer_gl0_inv
	s_and_saveexec_b32 s10, s2
	s_cbranch_execz .LBB30_6
; %bb.36:                               ;   in Loop: Header=BB30_7 Depth=1
	ds_load_b128 v[4:7], v3
	s_waitcnt lgkmcnt(0)
	v_cmp_lt_i64_e32 vcc_lo, v[6:7], v[4:5]
	v_dual_cndmask_b32 v5, v5, v7 :: v_dual_cndmask_b32 v4, v4, v6
	ds_store_b64 v3, v[4:5]
	s_branch .LBB30_6
.LBB30_37:
	s_mov_b32 s2, exec_lo
	v_cmpx_eq_u32_e32 0, v0
	s_cbranch_execz .LBB30_39
; %bb.38:
	s_load_b32 s2, s[0:1], 0x40
	v_mov_b32_e32 v0, 0
	s_load_b64 s[0:1], s[0:1], 0x48
	ds_load_b32 v1, v0 offset:2048
	s_waitcnt lgkmcnt(0)
	v_mov_b32_e32 v2, s2
	s_lshl_b64 s[2:3], s[16:17], 2
	s_delay_alu instid0(SALU_CYCLE_1)
	s_add_u32 s2, s0, s2
	s_addc_u32 s3, s1, s3
	s_clause 0x1
	global_store_b32 v0, v2, s[0:1]
	global_store_b32 v0, v1, s[2:3] offset:4
.LBB30_39:
	s_nop 0
	s_sendmsg sendmsg(MSG_DEALLOC_VGPRS)
	s_endpgm
	.section	.rodata,"a",@progbits
	.p2align	6, 0x0
	.amdhsa_kernel _ZN9rocsparseL42csr2bsr_nnz_block_per_row_multipass_kernelILj256ELj64EilEEvT2_S1_S1_S1_S1_21rocsparse_index_base_PKT1_PKS1_S2_PS3_
		.amdhsa_group_segment_fixed_size 2064
		.amdhsa_private_segment_fixed_size 0
		.amdhsa_kernarg_size 80
		.amdhsa_user_sgpr_count 15
		.amdhsa_user_sgpr_dispatch_ptr 0
		.amdhsa_user_sgpr_queue_ptr 0
		.amdhsa_user_sgpr_kernarg_segment_ptr 1
		.amdhsa_user_sgpr_dispatch_id 0
		.amdhsa_user_sgpr_private_segment_size 0
		.amdhsa_wavefront_size32 1
		.amdhsa_uses_dynamic_stack 0
		.amdhsa_enable_private_segment 0
		.amdhsa_system_sgpr_workgroup_id_x 1
		.amdhsa_system_sgpr_workgroup_id_y 0
		.amdhsa_system_sgpr_workgroup_id_z 0
		.amdhsa_system_sgpr_workgroup_info 0
		.amdhsa_system_vgpr_workitem_id 0
		.amdhsa_next_free_vgpr 28
		.amdhsa_next_free_sgpr 27
		.amdhsa_reserve_vcc 1
		.amdhsa_float_round_mode_32 0
		.amdhsa_float_round_mode_16_64 0
		.amdhsa_float_denorm_mode_32 3
		.amdhsa_float_denorm_mode_16_64 3
		.amdhsa_dx10_clamp 1
		.amdhsa_ieee_mode 1
		.amdhsa_fp16_overflow 0
		.amdhsa_workgroup_processor_mode 1
		.amdhsa_memory_ordered 1
		.amdhsa_forward_progress 0
		.amdhsa_shared_vgpr_count 0
		.amdhsa_exception_fp_ieee_invalid_op 0
		.amdhsa_exception_fp_denorm_src 0
		.amdhsa_exception_fp_ieee_div_zero 0
		.amdhsa_exception_fp_ieee_overflow 0
		.amdhsa_exception_fp_ieee_underflow 0
		.amdhsa_exception_fp_ieee_inexact 0
		.amdhsa_exception_int_div_zero 0
	.end_amdhsa_kernel
	.section	.text._ZN9rocsparseL42csr2bsr_nnz_block_per_row_multipass_kernelILj256ELj64EilEEvT2_S1_S1_S1_S1_21rocsparse_index_base_PKT1_PKS1_S2_PS3_,"axG",@progbits,_ZN9rocsparseL42csr2bsr_nnz_block_per_row_multipass_kernelILj256ELj64EilEEvT2_S1_S1_S1_S1_21rocsparse_index_base_PKT1_PKS1_S2_PS3_,comdat
.Lfunc_end30:
	.size	_ZN9rocsparseL42csr2bsr_nnz_block_per_row_multipass_kernelILj256ELj64EilEEvT2_S1_S1_S1_S1_21rocsparse_index_base_PKT1_PKS1_S2_PS3_, .Lfunc_end30-_ZN9rocsparseL42csr2bsr_nnz_block_per_row_multipass_kernelILj256ELj64EilEEvT2_S1_S1_S1_S1_21rocsparse_index_base_PKT1_PKS1_S2_PS3_
                                        ; -- End function
	.section	.AMDGPU.csdata,"",@progbits
; Kernel info:
; codeLenInByte = 2460
; NumSgprs: 29
; NumVgprs: 28
; ScratchSize: 0
; MemoryBound: 0
; FloatMode: 240
; IeeeMode: 1
; LDSByteSize: 2064 bytes/workgroup (compile time only)
; SGPRBlocks: 3
; VGPRBlocks: 3
; NumSGPRsForWavesPerEU: 29
; NumVGPRsForWavesPerEU: 28
; Occupancy: 16
; WaveLimiterHint : 0
; COMPUTE_PGM_RSRC2:SCRATCH_EN: 0
; COMPUTE_PGM_RSRC2:USER_SGPR: 15
; COMPUTE_PGM_RSRC2:TRAP_HANDLER: 0
; COMPUTE_PGM_RSRC2:TGID_X_EN: 1
; COMPUTE_PGM_RSRC2:TGID_Y_EN: 0
; COMPUTE_PGM_RSRC2:TGID_Z_EN: 0
; COMPUTE_PGM_RSRC2:TIDIG_COMP_CNT: 0
	.section	.text._ZN9rocsparseL25csr2bsr_nnz_65_inf_kernelILj32EilEEvT1_S1_S1_S1_S1_S1_21rocsparse_index_base_PKT0_PKS1_S2_PS3_S8_,"axG",@progbits,_ZN9rocsparseL25csr2bsr_nnz_65_inf_kernelILj32EilEEvT1_S1_S1_S1_S1_S1_21rocsparse_index_base_PKT0_PKS1_S2_PS3_S8_,comdat
	.globl	_ZN9rocsparseL25csr2bsr_nnz_65_inf_kernelILj32EilEEvT1_S1_S1_S1_S1_S1_21rocsparse_index_base_PKT0_PKS1_S2_PS3_S8_ ; -- Begin function _ZN9rocsparseL25csr2bsr_nnz_65_inf_kernelILj32EilEEvT1_S1_S1_S1_S1_S1_21rocsparse_index_base_PKT0_PKS1_S2_PS3_S8_
	.p2align	8
	.type	_ZN9rocsparseL25csr2bsr_nnz_65_inf_kernelILj32EilEEvT1_S1_S1_S1_S1_S1_21rocsparse_index_base_PKT0_PKS1_S2_PS3_S8_,@function
_ZN9rocsparseL25csr2bsr_nnz_65_inf_kernelILj32EilEEvT1_S1_S1_S1_S1_S1_21rocsparse_index_base_PKT0_PKS1_S2_PS3_S8_: ; @_ZN9rocsparseL25csr2bsr_nnz_65_inf_kernelILj32EilEEvT1_S1_S1_S1_S1_S1_21rocsparse_index_base_PKT0_PKS1_S2_PS3_S8_
; %bb.0:
	s_clause 0x2
	s_load_b256 s[4:11], s[0:1], 0x10
	s_load_b64 s[2:3], s[0:1], 0x58
	s_load_b32 s24, s[0:1], 0x30
	s_mov_b32 s12, s15
	s_waitcnt lgkmcnt(0)
	v_mad_u64_u32 v[2:3], null, v0, s10, 0
	s_mul_i32 s13, s15, s11
	s_mul_hi_u32 s15, s15, s10
	s_mul_i32 s14, s12, s10
	s_add_i32 s15, s15, s13
	v_cmp_gt_i64_e64 s25, s[10:11], 0
	s_lshl_b64 s[14:15], s[14:15], 8
	s_delay_alu instid0(VALU_DEP_2)
	v_mov_b32_e32 v1, v3
	s_add_u32 s13, s2, s14
	s_addc_u32 s14, s3, s15
	s_lshl_b64 s[2:3], s[10:11], 7
	v_cmp_lt_i64_e64 s15, s[10:11], 1
	v_mad_u64_u32 v[3:4], null, v0, s11, v[1:2]
	s_add_u32 s2, s13, s2
	s_addc_u32 s3, s14, s3
	v_mov_b32_e32 v1, 0
	s_delay_alu instid0(VALU_DEP_2) | instskip(NEXT) | instid1(VALU_DEP_1)
	v_lshlrev_b64 v[4:5], 2, v[2:3]
	v_add_co_u32 v2, vcc_lo, s13, v4
	s_delay_alu instid0(VALU_DEP_2)
	v_add_co_ci_u32_e32 v3, vcc_lo, s14, v5, vcc_lo
	v_add_co_u32 v4, vcc_lo, s2, v4
	v_add_co_ci_u32_e32 v5, vcc_lo, s3, v5, vcc_lo
	s_and_b32 vcc_lo, exec_lo, s15
	s_mov_b32 s13, 0
	s_cbranch_vccnz .LBB31_5
; %bb.1:
	s_load_b64 s[16:17], s[0:1], 0x38
	s_mul_i32 s2, s12, s9
	s_mul_hi_u32 s14, s12, s8
	s_mul_i32 s3, s12, s8
	s_add_i32 s18, s14, s2
	s_load_b64 s[14:15], s[0:1], 0x0
	v_add_co_u32 v6, s2, s3, v0
	s_delay_alu instid0(VALU_DEP_1) | instskip(SKIP_1) | instid1(VALU_DEP_2)
	v_add_co_ci_u32_e64 v7, null, s18, 0, s2
	v_dual_mov_b32 v13, v1 :: v_dual_mov_b32 v12, v0
	v_lshlrev_b64 v[8:9], 2, v[6:7]
	v_dual_mov_b32 v7, v5 :: v_dual_mov_b32 v6, v4
	s_waitcnt lgkmcnt(0)
	s_delay_alu instid0(VALU_DEP_2) | instskip(NEXT) | instid1(VALU_DEP_3)
	v_add_co_u32 v10, vcc_lo, v8, s16
	v_add_co_ci_u32_e32 v11, vcc_lo, s17, v9, vcc_lo
	v_dual_mov_b32 v9, v3 :: v_dual_mov_b32 v8, v2
	s_delay_alu instid0(VALU_DEP_3) | instskip(NEXT) | instid1(VALU_DEP_3)
	v_add_co_u32 v10, vcc_lo, v10, 4
	v_add_co_ci_u32_e32 v11, vcc_lo, 0, v11, vcc_lo
	s_mov_b64 s[16:17], s[10:11]
	s_set_inst_prefetch_distance 0x1
	s_branch .LBB31_3
	.p2align	6
.LBB31_2:                               ;   in Loop: Header=BB31_3 Depth=1
	s_or_b32 exec_lo, exec_lo, s2
	v_add_co_u32 v12, vcc_lo, v12, 32
	v_add_co_ci_u32_e32 v13, vcc_lo, 0, v13, vcc_lo
	v_add_co_u32 v8, vcc_lo, v8, 4
	v_add_co_ci_u32_e32 v9, vcc_lo, 0, v9, vcc_lo
	;; [unrolled: 2-line block ×3, first 2 shown]
	v_add_co_u32 v6, vcc_lo, v6, 4
	s_add_u32 s16, s16, -1
	v_add_co_ci_u32_e32 v7, vcc_lo, 0, v7, vcc_lo
	s_addc_u32 s17, s17, -1
	s_delay_alu instid0(SALU_CYCLE_1)
	s_cmp_eq_u64 s[16:17], 0
	s_cbranch_scc1 .LBB31_5
.LBB31_3:                               ; =>This Inner Loop Header: Depth=1
	v_add_co_u32 v14, vcc_lo, s3, v12
	v_add_co_ci_u32_e32 v15, vcc_lo, s18, v13, vcc_lo
	v_cmp_gt_i64_e64 s2, s[8:9], v[12:13]
	global_store_b32 v[8:9], v1, off
	global_store_b32 v[6:7], v1, off
	v_cmp_gt_i64_e32 vcc_lo, s[14:15], v[14:15]
	s_and_b32 s19, vcc_lo, s2
	s_delay_alu instid0(SALU_CYCLE_1)
	s_and_saveexec_b32 s2, s19
	s_cbranch_execz .LBB31_2
; %bb.4:                                ;   in Loop: Header=BB31_3 Depth=1
	global_load_b64 v[14:15], v[10:11], off offset:-4
	s_waitcnt vmcnt(0)
	v_subrev_nc_u32_e32 v14, s24, v14
	v_subrev_nc_u32_e32 v15, s24, v15
	global_store_b32 v[8:9], v14, off
	global_store_b32 v[6:7], v15, off
	s_branch .LBB31_2
.LBB31_5:
	s_set_inst_prefetch_distance 0x2
	s_load_b64 s[14:15], s[0:1], 0x50
	v_cmp_lt_i64_e64 s2, s[6:7], 1
	s_delay_alu instid0(VALU_DEP_1)
	s_and_b32 vcc_lo, exec_lo, s2
	v_cmp_eq_u32_e64 s2, 31, v0
	s_cbranch_vccnz .LBB31_24
; %bb.6:
	v_mbcnt_lo_u32_b32 v6, -1, 0
	v_cvt_f32_u32_e32 v1, s8
	s_sub_i32 s3, 0, s8
	s_load_b64 s[16:17], s[0:1], 0x40
	s_mov_b32 s26, 0
	v_xor_b32_e32 v7, 16, v6
	v_rcp_iflag_f32_e32 v1, v1
	v_xor_b32_e32 v8, 8, v6
	v_xor_b32_e32 v9, 4, v6
	;; [unrolled: 1-line block ×3, first 2 shown]
	v_cmp_gt_i32_e32 vcc_lo, 32, v7
	s_ashr_i32 s18, s9, 31
	v_mov_b32_e32 v25, 0x7c
	v_cndmask_b32_e32 v7, v6, v7, vcc_lo
	v_cmp_gt_i32_e32 vcc_lo, 32, v8
	s_delay_alu instid0(TRANS32_DEP_1) | instskip(SKIP_1) | instid1(VALU_DEP_2)
	v_dual_mul_f32 v1, 0x4f7ffffe, v1 :: v_dual_cndmask_b32 v8, v6, v8
	v_cmp_gt_i32_e32 vcc_lo, 32, v9
	v_cvt_u32_f32_e32 v11, v1
	v_xor_b32_e32 v1, 1, v6
	s_delay_alu instid0(VALU_DEP_4) | instskip(SKIP_2) | instid1(VALU_DEP_2)
	v_lshlrev_b32_e32 v21, 2, v8
	v_cndmask_b32_e32 v9, v6, v9, vcc_lo
	v_cmp_gt_i32_e32 vcc_lo, 32, v10
	v_lshlrev_b32_e32 v22, 2, v9
	v_cndmask_b32_e32 v10, v6, v10, vcc_lo
	v_cmp_gt_i32_e32 vcc_lo, 32, v1
	v_lshlrev_b32_e32 v20, 2, v7
	v_mul_lo_u32 v7, s3, v11
	s_delay_alu instid0(VALU_DEP_4) | instskip(SKIP_1) | instid1(VALU_DEP_3)
	v_dual_mov_b32 v8, 0 :: v_dual_lshlrev_b32 v23, 2, v10
	v_dual_cndmask_b32 v1, v6, v1 :: v_dual_mov_b32 v6, 0
	v_mul_hi_u32 v7, v11, v7
	s_delay_alu instid0(VALU_DEP_2) | instskip(NEXT) | instid1(VALU_DEP_2)
	v_dual_mov_b32 v9, 0 :: v_dual_lshlrev_b32 v24, 2, v1
	v_dual_mov_b32 v1, 0 :: v_dual_add_nc_u32 v26, v11, v7
	s_branch .LBB31_8
.LBB31_7:                               ;   in Loop: Header=BB31_8 Depth=1
	ds_bpermute_b32 v7, v20, v10
	ds_bpermute_b32 v8, v20, v11
	s_waitcnt lgkmcnt(0)
	v_cmp_lt_i64_e32 vcc_lo, v[7:8], v[10:11]
	v_dual_cndmask_b32 v8, v11, v8 :: v_dual_cndmask_b32 v7, v10, v7
	ds_bpermute_b32 v10, v21, v8
	ds_bpermute_b32 v9, v21, v7
	s_waitcnt lgkmcnt(0)
	v_cmp_lt_i64_e32 vcc_lo, v[9:10], v[7:8]
	v_dual_cndmask_b32 v8, v8, v10 :: v_dual_cndmask_b32 v7, v7, v9
	;; [unrolled: 5-line block ×5, first 2 shown]
	ds_bpermute_b32 v9, v25, v8
	ds_bpermute_b32 v8, v25, v7
	s_waitcnt lgkmcnt(0)
	v_cmp_gt_i64_e32 vcc_lo, s[6:7], v[8:9]
	v_add_co_u32 v8, s3, v8, 1
	s_delay_alu instid0(VALU_DEP_1) | instskip(SKIP_1) | instid1(SALU_CYCLE_1)
	v_add_co_ci_u32_e64 v9, s3, 0, v9, s3
	s_and_b32 s3, s2, vcc_lo
	v_cndmask_b32_e64 v7, 0, 1, s3
	s_delay_alu instid0(VALU_DEP_2) | instskip(NEXT) | instid1(VALU_DEP_2)
	v_cmp_le_i64_e32 vcc_lo, s[6:7], v[8:9]
	v_add_nc_u32_e32 v1, v1, v7
	s_or_b32 s26, vcc_lo, s26
	s_delay_alu instid0(SALU_CYCLE_1)
	s_and_not1_b32 exec_lo, exec_lo, s26
	s_cbranch_execz .LBB31_23
.LBB31_8:                               ; =>This Loop Header: Depth=1
                                        ;     Child Loop BB31_12 Depth 2
                                        ;       Child Loop BB31_15 Depth 3
	v_dual_mov_b32 v11, s7 :: v_dual_mov_b32 v10, s6
	s_and_not1_b32 vcc_lo, exec_lo, s25
	s_cbranch_vccnz .LBB31_7
; %bb.9:                                ;   in Loop: Header=BB31_8 Depth=1
	v_dual_mov_b32 v11, s7 :: v_dual_mov_b32 v10, s6
	s_mov_b64 s[20:21], 0
	s_branch .LBB31_12
.LBB31_10:                              ;   in Loop: Header=BB31_12 Depth=2
	s_or_b32 exec_lo, exec_lo, s3
.LBB31_11:                              ;   in Loop: Header=BB31_12 Depth=2
	s_delay_alu instid0(SALU_CYCLE_1) | instskip(SKIP_2) | instid1(SALU_CYCLE_1)
	s_or_b32 exec_lo, exec_lo, s27
	s_add_u32 s20, s20, 1
	s_addc_u32 s21, s21, 0
	s_cmp_eq_u64 s[20:21], s[10:11]
	s_cbranch_scc1 .LBB31_7
.LBB31_12:                              ;   Parent Loop BB31_8 Depth=1
                                        ; =>  This Loop Header: Depth=2
                                        ;       Child Loop BB31_15 Depth 3
	s_lshl_b64 s[22:23], s[20:21], 2
	s_mov_b32 s27, exec_lo
	v_add_co_u32 v12, vcc_lo, v2, s22
	v_add_co_ci_u32_e32 v13, vcc_lo, s23, v3, vcc_lo
	v_add_co_u32 v14, vcc_lo, v4, s22
	v_add_co_ci_u32_e32 v15, vcc_lo, s23, v5, vcc_lo
	s_clause 0x1
	global_load_b32 v18, v[12:13], off
	global_load_b32 v27, v[14:15], off
	s_waitcnt vmcnt(0)
	v_cmpx_lt_i32_e64 v18, v27
	s_cbranch_execz .LBB31_11
; %bb.13:                               ;   in Loop: Header=BB31_12 Depth=2
	v_ashrrev_i32_e32 v19, 31, v18
	s_mov_b32 s28, 0
                                        ; implicit-def: $sgpr29
                                        ; implicit-def: $sgpr30
	s_delay_alu instid0(VALU_DEP_1) | instskip(SKIP_1) | instid1(VALU_DEP_1)
	v_lshlrev_b64 v[14:15], 3, v[18:19]
	s_waitcnt lgkmcnt(0)
	v_add_co_u32 v14, vcc_lo, s16, v14
	s_delay_alu instid0(VALU_DEP_2)
	v_add_co_ci_u32_e32 v15, vcc_lo, s17, v15, vcc_lo
	s_branch .LBB31_15
.LBB31_14:                              ;   in Loop: Header=BB31_15 Depth=3
	s_or_b32 exec_lo, exec_lo, s19
	s_delay_alu instid0(SALU_CYCLE_1) | instskip(NEXT) | instid1(SALU_CYCLE_1)
	s_and_b32 s3, exec_lo, s3
	s_or_b32 s28, s3, s28
	s_and_not1_b32 s3, s29, exec_lo
	s_and_b32 s19, s30, exec_lo
	s_delay_alu instid0(SALU_CYCLE_1)
	s_or_b32 s29, s3, s19
	s_and_not1_b32 exec_lo, exec_lo, s28
	s_cbranch_execz .LBB31_21
.LBB31_15:                              ;   Parent Loop BB31_8 Depth=1
                                        ;     Parent Loop BB31_12 Depth=2
                                        ; =>    This Inner Loop Header: Depth=3
	global_load_b64 v[16:17], v[14:15], off
	s_waitcnt vmcnt(0)
	v_sub_co_u32 v19, vcc_lo, v16, s24
	v_subrev_co_ci_u32_e32 v28, vcc_lo, 0, v17, vcc_lo
                                        ; implicit-def: $vgpr16_vgpr17
	s_delay_alu instid0(VALU_DEP_1) | instskip(NEXT) | instid1(VALU_DEP_1)
	v_or_b32_e32 v7, s9, v28
	v_cmp_ne_u64_e32 vcc_lo, 0, v[6:7]
	v_mov_b32_e32 v7, v18
	s_and_saveexec_b32 s3, vcc_lo
	s_delay_alu instid0(SALU_CYCLE_1)
	s_xor_b32 s31, exec_lo, s3
	s_cbranch_execz .LBB31_17
; %bb.16:                               ;   in Loop: Header=BB31_15 Depth=3
	s_add_u32 s22, s8, s18
	s_mov_b32 s19, s18
	s_addc_u32 s23, s9, s18
	s_delay_alu instid0(SALU_CYCLE_1) | instskip(NEXT) | instid1(SALU_CYCLE_1)
	s_xor_b64 s[22:23], s[22:23], s[18:19]
	v_cvt_f32_u32_e32 v16, s22
	v_cvt_f32_u32_e32 v17, s23
	s_sub_u32 s3, 0, s22
	s_subb_u32 s19, 0, s23
	s_delay_alu instid0(VALU_DEP_1) | instskip(NEXT) | instid1(VALU_DEP_1)
	v_fmac_f32_e32 v16, 0x4f800000, v17
	v_rcp_f32_e32 v16, v16
	s_waitcnt_depctr 0xfff
	v_mul_f32_e32 v16, 0x5f7ffffc, v16
	s_delay_alu instid0(VALU_DEP_1) | instskip(NEXT) | instid1(VALU_DEP_1)
	v_mul_f32_e32 v17, 0x2f800000, v16
	v_trunc_f32_e32 v17, v17
	s_delay_alu instid0(VALU_DEP_1) | instskip(SKIP_1) | instid1(VALU_DEP_2)
	v_fmac_f32_e32 v16, 0xcf800000, v17
	v_cvt_u32_f32_e32 v17, v17
	v_cvt_u32_f32_e32 v16, v16
	s_delay_alu instid0(VALU_DEP_2) | instskip(NEXT) | instid1(VALU_DEP_2)
	v_mul_lo_u32 v18, s3, v17
	v_mul_hi_u32 v29, s3, v16
	v_mul_lo_u32 v30, s19, v16
	s_delay_alu instid0(VALU_DEP_2) | instskip(SKIP_1) | instid1(VALU_DEP_2)
	v_add_nc_u32_e32 v18, v29, v18
	v_mul_lo_u32 v29, s3, v16
	v_add_nc_u32_e32 v18, v18, v30
	s_delay_alu instid0(VALU_DEP_2) | instskip(NEXT) | instid1(VALU_DEP_2)
	v_mul_hi_u32 v30, v16, v29
	v_mul_lo_u32 v31, v16, v18
	v_mul_hi_u32 v32, v16, v18
	v_mul_hi_u32 v33, v17, v29
	v_mul_lo_u32 v29, v17, v29
	v_mul_hi_u32 v34, v17, v18
	v_mul_lo_u32 v18, v17, v18
	v_add_co_u32 v30, vcc_lo, v30, v31
	v_add_co_ci_u32_e32 v31, vcc_lo, 0, v32, vcc_lo
	s_delay_alu instid0(VALU_DEP_2) | instskip(NEXT) | instid1(VALU_DEP_2)
	v_add_co_u32 v29, vcc_lo, v30, v29
	v_add_co_ci_u32_e32 v29, vcc_lo, v31, v33, vcc_lo
	v_add_co_ci_u32_e32 v30, vcc_lo, 0, v34, vcc_lo
	v_ashrrev_i32_e32 v33, 31, v28
	s_delay_alu instid0(VALU_DEP_3) | instskip(NEXT) | instid1(VALU_DEP_3)
	v_add_co_u32 v18, vcc_lo, v29, v18
	v_add_co_ci_u32_e32 v29, vcc_lo, 0, v30, vcc_lo
	s_delay_alu instid0(VALU_DEP_2) | instskip(NEXT) | instid1(VALU_DEP_2)
	v_add_co_u32 v16, vcc_lo, v16, v18
	v_add_co_ci_u32_e32 v17, vcc_lo, v17, v29, vcc_lo
	s_delay_alu instid0(VALU_DEP_2) | instskip(SKIP_1) | instid1(VALU_DEP_3)
	v_mul_hi_u32 v18, s3, v16
	v_mul_lo_u32 v30, s19, v16
	v_mul_lo_u32 v29, s3, v17
	s_delay_alu instid0(VALU_DEP_1) | instskip(SKIP_1) | instid1(VALU_DEP_2)
	v_add_nc_u32_e32 v18, v18, v29
	v_mul_lo_u32 v29, s3, v16
	v_add_nc_u32_e32 v18, v18, v30
	s_delay_alu instid0(VALU_DEP_2) | instskip(NEXT) | instid1(VALU_DEP_2)
	v_mul_hi_u32 v30, v16, v29
	v_mul_lo_u32 v31, v16, v18
	v_mul_hi_u32 v32, v16, v18
	v_mul_hi_u32 v34, v17, v29
	v_mul_lo_u32 v29, v17, v29
	v_mul_hi_u32 v35, v17, v18
	v_mul_lo_u32 v18, v17, v18
	v_add_co_u32 v30, vcc_lo, v30, v31
	v_add_co_ci_u32_e32 v31, vcc_lo, 0, v32, vcc_lo
	s_delay_alu instid0(VALU_DEP_2) | instskip(NEXT) | instid1(VALU_DEP_2)
	v_add_co_u32 v29, vcc_lo, v30, v29
	v_add_co_ci_u32_e32 v29, vcc_lo, v31, v34, vcc_lo
	v_add_co_ci_u32_e32 v30, vcc_lo, 0, v35, vcc_lo
	v_add_co_u32 v19, vcc_lo, v19, v33
	v_add_co_ci_u32_e32 v28, vcc_lo, v28, v33, vcc_lo
	s_delay_alu instid0(VALU_DEP_4) | instskip(NEXT) | instid1(VALU_DEP_4)
	v_add_co_u32 v18, vcc_lo, v29, v18
	v_add_co_ci_u32_e32 v29, vcc_lo, 0, v30, vcc_lo
	s_delay_alu instid0(VALU_DEP_4) | instskip(NEXT) | instid1(VALU_DEP_3)
	v_xor_b32_e32 v30, v19, v33
	v_add_co_u32 v31, vcc_lo, v16, v18
	s_delay_alu instid0(VALU_DEP_3) | instskip(SKIP_1) | instid1(VALU_DEP_3)
	v_add_co_ci_u32_e32 v32, vcc_lo, v17, v29, vcc_lo
	v_xor_b32_e32 v34, v28, v33
	v_mul_hi_u32 v35, v30, v31
	s_delay_alu instid0(VALU_DEP_3) | instskip(NEXT) | instid1(VALU_DEP_3)
	v_mad_u64_u32 v[16:17], null, v30, v32, 0
	v_mad_u64_u32 v[18:19], null, v34, v31, 0
	;; [unrolled: 1-line block ×3, first 2 shown]
	s_delay_alu instid0(VALU_DEP_3) | instskip(NEXT) | instid1(VALU_DEP_4)
	v_add_co_u32 v16, vcc_lo, v35, v16
	v_add_co_ci_u32_e32 v17, vcc_lo, 0, v17, vcc_lo
	s_delay_alu instid0(VALU_DEP_2) | instskip(NEXT) | instid1(VALU_DEP_2)
	v_add_co_u32 v16, vcc_lo, v16, v18
	v_add_co_ci_u32_e32 v16, vcc_lo, v17, v19, vcc_lo
	v_add_co_ci_u32_e32 v17, vcc_lo, 0, v29, vcc_lo
	s_delay_alu instid0(VALU_DEP_2) | instskip(NEXT) | instid1(VALU_DEP_2)
	v_add_co_u32 v18, vcc_lo, v16, v28
	v_add_co_ci_u32_e32 v19, vcc_lo, 0, v17, vcc_lo
	s_delay_alu instid0(VALU_DEP_2) | instskip(SKIP_1) | instid1(VALU_DEP_3)
	v_mul_lo_u32 v28, s23, v18
	v_mad_u64_u32 v[16:17], null, s22, v18, 0
	v_mul_lo_u32 v29, s22, v19
	s_delay_alu instid0(VALU_DEP_2) | instskip(NEXT) | instid1(VALU_DEP_2)
	v_sub_co_u32 v16, vcc_lo, v30, v16
	v_add3_u32 v17, v17, v29, v28
	s_delay_alu instid0(VALU_DEP_1) | instskip(NEXT) | instid1(VALU_DEP_1)
	v_sub_nc_u32_e32 v28, v34, v17
	v_subrev_co_ci_u32_e64 v28, s3, s23, v28, vcc_lo
	v_add_co_u32 v29, s3, v18, 2
	s_delay_alu instid0(VALU_DEP_1) | instskip(SKIP_3) | instid1(VALU_DEP_3)
	v_add_co_ci_u32_e64 v30, s3, 0, v19, s3
	v_sub_co_u32 v31, s3, v16, s22
	v_sub_co_ci_u32_e32 v17, vcc_lo, v34, v17, vcc_lo
	v_subrev_co_ci_u32_e64 v28, s3, 0, v28, s3
	v_cmp_le_u32_e32 vcc_lo, s22, v31
	s_delay_alu instid0(VALU_DEP_3) | instskip(SKIP_1) | instid1(VALU_DEP_4)
	v_cmp_eq_u32_e64 s3, s23, v17
	v_cndmask_b32_e64 v31, 0, -1, vcc_lo
	v_cmp_le_u32_e32 vcc_lo, s23, v28
	v_cndmask_b32_e64 v32, 0, -1, vcc_lo
	v_cmp_le_u32_e32 vcc_lo, s22, v16
	;; [unrolled: 2-line block ×3, first 2 shown]
	v_cndmask_b32_e64 v34, 0, -1, vcc_lo
	v_cmp_eq_u32_e32 vcc_lo, s23, v28
	s_delay_alu instid0(VALU_DEP_2) | instskip(SKIP_3) | instid1(VALU_DEP_3)
	v_cndmask_b32_e64 v16, v34, v16, s3
	v_cndmask_b32_e32 v28, v32, v31, vcc_lo
	v_add_co_u32 v31, vcc_lo, v18, 1
	v_add_co_ci_u32_e32 v32, vcc_lo, 0, v19, vcc_lo
	v_cmp_ne_u32_e32 vcc_lo, 0, v28
	s_delay_alu instid0(VALU_DEP_2) | instskip(SKIP_2) | instid1(VALU_DEP_3)
	v_dual_cndmask_b32 v17, v32, v30 :: v_dual_cndmask_b32 v28, v31, v29
	v_cmp_ne_u32_e32 vcc_lo, 0, v16
	v_xor_b32_e32 v29, s18, v33
	v_dual_cndmask_b32 v16, v19, v17 :: v_dual_cndmask_b32 v17, v18, v28
                                        ; implicit-def: $vgpr19
	s_delay_alu instid0(VALU_DEP_1) | instskip(NEXT) | instid1(VALU_DEP_2)
	v_xor_b32_e32 v18, v16, v29
	v_xor_b32_e32 v17, v17, v29
	s_delay_alu instid0(VALU_DEP_1) | instskip(NEXT) | instid1(VALU_DEP_3)
	v_sub_co_u32 v16, vcc_lo, v17, v29
	v_sub_co_ci_u32_e32 v17, vcc_lo, v18, v29, vcc_lo
.LBB31_17:                              ;   in Loop: Header=BB31_15 Depth=3
	s_and_not1_saveexec_b32 s3, s31
; %bb.18:                               ;   in Loop: Header=BB31_15 Depth=3
	v_mul_hi_u32 v16, v19, v26
	s_delay_alu instid0(VALU_DEP_1) | instskip(NEXT) | instid1(VALU_DEP_1)
	v_mul_lo_u32 v17, v16, s8
	v_sub_nc_u32_e32 v17, v19, v17
	s_delay_alu instid0(VALU_DEP_1) | instskip(SKIP_1) | instid1(VALU_DEP_2)
	v_subrev_nc_u32_e32 v19, s8, v17
	v_cmp_le_u32_e32 vcc_lo, s8, v17
	v_dual_cndmask_b32 v17, v17, v19 :: v_dual_add_nc_u32 v18, 1, v16
	s_delay_alu instid0(VALU_DEP_1) | instskip(NEXT) | instid1(VALU_DEP_2)
	v_cndmask_b32_e32 v16, v16, v18, vcc_lo
	v_cmp_le_u32_e32 vcc_lo, s8, v17
	s_delay_alu instid0(VALU_DEP_2) | instskip(NEXT) | instid1(VALU_DEP_1)
	v_dual_mov_b32 v17, v6 :: v_dual_add_nc_u32 v18, 1, v16
	v_cndmask_b32_e32 v16, v16, v18, vcc_lo
; %bb.19:                               ;   in Loop: Header=BB31_15 Depth=3
	s_or_b32 exec_lo, exec_lo, s3
	s_mov_b32 s3, -1
	s_or_b32 s30, s30, exec_lo
	s_mov_b32 s19, exec_lo
                                        ; implicit-def: $vgpr18
	v_cmpx_lt_i64_e64 v[16:17], v[8:9]
	s_cbranch_execz .LBB31_14
; %bb.20:                               ;   in Loop: Header=BB31_15 Depth=3
	v_add_nc_u32_e32 v18, 1, v7
	v_add_co_u32 v14, s3, v14, 8
	s_delay_alu instid0(VALU_DEP_1) | instskip(NEXT) | instid1(VALU_DEP_3)
	v_add_co_ci_u32_e64 v15, s3, 0, v15, s3
	v_cmp_ge_i32_e32 vcc_lo, v18, v27
	s_and_not1_b32 s30, s30, exec_lo
	s_or_not1_b32 s3, vcc_lo, exec_lo
	s_branch .LBB31_14
.LBB31_21:                              ;   in Loop: Header=BB31_12 Depth=2
	s_or_b32 exec_lo, exec_lo, s28
	s_and_saveexec_b32 s3, s29
	s_delay_alu instid0(SALU_CYCLE_1)
	s_xor_b32 s3, exec_lo, s3
	s_cbranch_execz .LBB31_10
; %bb.22:                               ;   in Loop: Header=BB31_12 Depth=2
	v_cmp_lt_i64_e32 vcc_lo, v[16:17], v[10:11]
	global_store_b32 v[12:13], v7, off
	v_dual_cndmask_b32 v11, v11, v17 :: v_dual_cndmask_b32 v10, v10, v16
	s_branch .LBB31_10
.LBB31_23:
	s_or_b32 exec_lo, exec_lo, s26
	s_branch .LBB31_25
.LBB31_24:
	v_mov_b32_e32 v1, 0
.LBB31_25:
	v_cmp_lt_i64_e64 s2, s[12:13], s[4:5]
	v_cmp_eq_u32_e32 vcc_lo, 31, v0
	s_delay_alu instid0(VALU_DEP_2) | instskip(NEXT) | instid1(SALU_CYCLE_1)
	s_and_b32 s2, vcc_lo, s2
	s_and_saveexec_b32 s3, s2
	s_cbranch_execz .LBB31_27
; %bb.26:
	s_load_b32 s0, s[0:1], 0x48
	v_mov_b32_e32 v0, 0
	s_waitcnt lgkmcnt(0)
	v_mov_b32_e32 v2, s0
	s_lshl_b64 s[0:1], s[12:13], 2
	s_delay_alu instid0(SALU_CYCLE_1)
	s_add_u32 s0, s14, s0
	s_addc_u32 s1, s15, s1
	s_clause 0x1
	global_store_b32 v0, v2, s[14:15]
	global_store_b32 v0, v1, s[0:1] offset:4
.LBB31_27:
	s_nop 0
	s_sendmsg sendmsg(MSG_DEALLOC_VGPRS)
	s_endpgm
	.section	.rodata,"a",@progbits
	.p2align	6, 0x0
	.amdhsa_kernel _ZN9rocsparseL25csr2bsr_nnz_65_inf_kernelILj32EilEEvT1_S1_S1_S1_S1_S1_21rocsparse_index_base_PKT0_PKS1_S2_PS3_S8_
		.amdhsa_group_segment_fixed_size 0
		.amdhsa_private_segment_fixed_size 0
		.amdhsa_kernarg_size 96
		.amdhsa_user_sgpr_count 15
		.amdhsa_user_sgpr_dispatch_ptr 0
		.amdhsa_user_sgpr_queue_ptr 0
		.amdhsa_user_sgpr_kernarg_segment_ptr 1
		.amdhsa_user_sgpr_dispatch_id 0
		.amdhsa_user_sgpr_private_segment_size 0
		.amdhsa_wavefront_size32 1
		.amdhsa_uses_dynamic_stack 0
		.amdhsa_enable_private_segment 0
		.amdhsa_system_sgpr_workgroup_id_x 1
		.amdhsa_system_sgpr_workgroup_id_y 0
		.amdhsa_system_sgpr_workgroup_id_z 0
		.amdhsa_system_sgpr_workgroup_info 0
		.amdhsa_system_vgpr_workitem_id 0
		.amdhsa_next_free_vgpr 36
		.amdhsa_next_free_sgpr 32
		.amdhsa_reserve_vcc 1
		.amdhsa_float_round_mode_32 0
		.amdhsa_float_round_mode_16_64 0
		.amdhsa_float_denorm_mode_32 3
		.amdhsa_float_denorm_mode_16_64 3
		.amdhsa_dx10_clamp 1
		.amdhsa_ieee_mode 1
		.amdhsa_fp16_overflow 0
		.amdhsa_workgroup_processor_mode 1
		.amdhsa_memory_ordered 1
		.amdhsa_forward_progress 0
		.amdhsa_shared_vgpr_count 0
		.amdhsa_exception_fp_ieee_invalid_op 0
		.amdhsa_exception_fp_denorm_src 0
		.amdhsa_exception_fp_ieee_div_zero 0
		.amdhsa_exception_fp_ieee_overflow 0
		.amdhsa_exception_fp_ieee_underflow 0
		.amdhsa_exception_fp_ieee_inexact 0
		.amdhsa_exception_int_div_zero 0
	.end_amdhsa_kernel
	.section	.text._ZN9rocsparseL25csr2bsr_nnz_65_inf_kernelILj32EilEEvT1_S1_S1_S1_S1_S1_21rocsparse_index_base_PKT0_PKS1_S2_PS3_S8_,"axG",@progbits,_ZN9rocsparseL25csr2bsr_nnz_65_inf_kernelILj32EilEEvT1_S1_S1_S1_S1_S1_21rocsparse_index_base_PKT0_PKS1_S2_PS3_S8_,comdat
.Lfunc_end31:
	.size	_ZN9rocsparseL25csr2bsr_nnz_65_inf_kernelILj32EilEEvT1_S1_S1_S1_S1_S1_21rocsparse_index_base_PKT0_PKS1_S2_PS3_S8_, .Lfunc_end31-_ZN9rocsparseL25csr2bsr_nnz_65_inf_kernelILj32EilEEvT1_S1_S1_S1_S1_S1_21rocsparse_index_base_PKT0_PKS1_S2_PS3_S8_
                                        ; -- End function
	.section	.AMDGPU.csdata,"",@progbits
; Kernel info:
; codeLenInByte = 2332
; NumSgprs: 34
; NumVgprs: 36
; ScratchSize: 0
; MemoryBound: 0
; FloatMode: 240
; IeeeMode: 1
; LDSByteSize: 0 bytes/workgroup (compile time only)
; SGPRBlocks: 4
; VGPRBlocks: 4
; NumSGPRsForWavesPerEU: 34
; NumVGPRsForWavesPerEU: 36
; Occupancy: 16
; WaveLimiterHint : 0
; COMPUTE_PGM_RSRC2:SCRATCH_EN: 0
; COMPUTE_PGM_RSRC2:USER_SGPR: 15
; COMPUTE_PGM_RSRC2:TRAP_HANDLER: 0
; COMPUTE_PGM_RSRC2:TGID_X_EN: 1
; COMPUTE_PGM_RSRC2:TGID_Y_EN: 0
; COMPUTE_PGM_RSRC2:TGID_Z_EN: 0
; COMPUTE_PGM_RSRC2:TIDIG_COMP_CNT: 0
	.section	.text._ZN9rocsparseL36csr2bsr_nnz_compute_nnz_total_kernelILj1EilEEvT1_PKT0_PS2_,"axG",@progbits,_ZN9rocsparseL36csr2bsr_nnz_compute_nnz_total_kernelILj1EilEEvT1_PKT0_PS2_,comdat
	.globl	_ZN9rocsparseL36csr2bsr_nnz_compute_nnz_total_kernelILj1EilEEvT1_PKT0_PS2_ ; -- Begin function _ZN9rocsparseL36csr2bsr_nnz_compute_nnz_total_kernelILj1EilEEvT1_PKT0_PS2_
	.p2align	8
	.type	_ZN9rocsparseL36csr2bsr_nnz_compute_nnz_total_kernelILj1EilEEvT1_PKT0_PS2_,@function
_ZN9rocsparseL36csr2bsr_nnz_compute_nnz_total_kernelILj1EilEEvT1_PKT0_PS2_: ; @_ZN9rocsparseL36csr2bsr_nnz_compute_nnz_total_kernelILj1EilEEvT1_PKT0_PS2_
; %bb.0:
	s_sub_i32 s2, 0, s15
	s_delay_alu instid0(SALU_CYCLE_1)
	s_cmp_lg_u32 s2, 0
	s_cbranch_scc1 .LBB32_2
; %bb.1:
	s_clause 0x1
	s_load_b128 s[4:7], s[0:1], 0x0
	s_load_b64 s[0:1], s[0:1], 0x10
	s_waitcnt lgkmcnt(0)
	s_lshl_b64 s[2:3], s[4:5], 2
	s_delay_alu instid0(SALU_CYCLE_1)
	s_add_u32 s2, s6, s2
	s_addc_u32 s3, s7, s3
	s_clause 0x1
	s_load_b32 s2, s[2:3], 0x0
	s_load_b32 s3, s[6:7], 0x0
	s_waitcnt lgkmcnt(0)
	s_sub_i32 s2, s2, s3
	s_delay_alu instid0(SALU_CYCLE_1)
	v_dual_mov_b32 v0, 0 :: v_dual_mov_b32 v1, s2
	global_store_b32 v0, v1, s[0:1]
.LBB32_2:
	s_nop 0
	s_sendmsg sendmsg(MSG_DEALLOC_VGPRS)
	s_endpgm
	.section	.rodata,"a",@progbits
	.p2align	6, 0x0
	.amdhsa_kernel _ZN9rocsparseL36csr2bsr_nnz_compute_nnz_total_kernelILj1EilEEvT1_PKT0_PS2_
		.amdhsa_group_segment_fixed_size 0
		.amdhsa_private_segment_fixed_size 0
		.amdhsa_kernarg_size 24
		.amdhsa_user_sgpr_count 15
		.amdhsa_user_sgpr_dispatch_ptr 0
		.amdhsa_user_sgpr_queue_ptr 0
		.amdhsa_user_sgpr_kernarg_segment_ptr 1
		.amdhsa_user_sgpr_dispatch_id 0
		.amdhsa_user_sgpr_private_segment_size 0
		.amdhsa_wavefront_size32 1
		.amdhsa_uses_dynamic_stack 0
		.amdhsa_enable_private_segment 0
		.amdhsa_system_sgpr_workgroup_id_x 1
		.amdhsa_system_sgpr_workgroup_id_y 0
		.amdhsa_system_sgpr_workgroup_id_z 0
		.amdhsa_system_sgpr_workgroup_info 0
		.amdhsa_system_vgpr_workitem_id 0
		.amdhsa_next_free_vgpr 2
		.amdhsa_next_free_sgpr 16
		.amdhsa_reserve_vcc 0
		.amdhsa_float_round_mode_32 0
		.amdhsa_float_round_mode_16_64 0
		.amdhsa_float_denorm_mode_32 3
		.amdhsa_float_denorm_mode_16_64 3
		.amdhsa_dx10_clamp 1
		.amdhsa_ieee_mode 1
		.amdhsa_fp16_overflow 0
		.amdhsa_workgroup_processor_mode 1
		.amdhsa_memory_ordered 1
		.amdhsa_forward_progress 0
		.amdhsa_shared_vgpr_count 0
		.amdhsa_exception_fp_ieee_invalid_op 0
		.amdhsa_exception_fp_denorm_src 0
		.amdhsa_exception_fp_ieee_div_zero 0
		.amdhsa_exception_fp_ieee_overflow 0
		.amdhsa_exception_fp_ieee_underflow 0
		.amdhsa_exception_fp_ieee_inexact 0
		.amdhsa_exception_int_div_zero 0
	.end_amdhsa_kernel
	.section	.text._ZN9rocsparseL36csr2bsr_nnz_compute_nnz_total_kernelILj1EilEEvT1_PKT0_PS2_,"axG",@progbits,_ZN9rocsparseL36csr2bsr_nnz_compute_nnz_total_kernelILj1EilEEvT1_PKT0_PS2_,comdat
.Lfunc_end32:
	.size	_ZN9rocsparseL36csr2bsr_nnz_compute_nnz_total_kernelILj1EilEEvT1_PKT0_PS2_, .Lfunc_end32-_ZN9rocsparseL36csr2bsr_nnz_compute_nnz_total_kernelILj1EilEEvT1_PKT0_PS2_
                                        ; -- End function
	.section	.AMDGPU.csdata,"",@progbits
; Kernel info:
; codeLenInByte = 116
; NumSgprs: 16
; NumVgprs: 2
; ScratchSize: 0
; MemoryBound: 0
; FloatMode: 240
; IeeeMode: 1
; LDSByteSize: 0 bytes/workgroup (compile time only)
; SGPRBlocks: 1
; VGPRBlocks: 0
; NumSGPRsForWavesPerEU: 16
; NumVGPRsForWavesPerEU: 2
; Occupancy: 16
; WaveLimiterHint : 0
; COMPUTE_PGM_RSRC2:SCRATCH_EN: 0
; COMPUTE_PGM_RSRC2:USER_SGPR: 15
; COMPUTE_PGM_RSRC2:TRAP_HANDLER: 0
; COMPUTE_PGM_RSRC2:TGID_X_EN: 1
; COMPUTE_PGM_RSRC2:TGID_Y_EN: 0
; COMPUTE_PGM_RSRC2:TGID_Z_EN: 0
; COMPUTE_PGM_RSRC2:TIDIG_COMP_CNT: 0
	.section	.text._ZN9rocsparseL39csr2bsr_nnz_block_dim_equals_one_kernelILj256EllEEvT1_21rocsparse_index_base_PKT0_S2_PS3_S6_,"axG",@progbits,_ZN9rocsparseL39csr2bsr_nnz_block_dim_equals_one_kernelILj256EllEEvT1_21rocsparse_index_base_PKT0_S2_PS3_S6_,comdat
	.globl	_ZN9rocsparseL39csr2bsr_nnz_block_dim_equals_one_kernelILj256EllEEvT1_21rocsparse_index_base_PKT0_S2_PS3_S6_ ; -- Begin function _ZN9rocsparseL39csr2bsr_nnz_block_dim_equals_one_kernelILj256EllEEvT1_21rocsparse_index_base_PKT0_S2_PS3_S6_
	.p2align	8
	.type	_ZN9rocsparseL39csr2bsr_nnz_block_dim_equals_one_kernelILj256EllEEvT1_21rocsparse_index_base_PKT0_S2_PS3_S6_,@function
_ZN9rocsparseL39csr2bsr_nnz_block_dim_equals_one_kernelILj256EllEEvT1_21rocsparse_index_base_PKT0_S2_PS3_S6_: ; @_ZN9rocsparseL39csr2bsr_nnz_block_dim_equals_one_kernelILj256EllEEvT1_21rocsparse_index_base_PKT0_S2_PS3_S6_
; %bb.0:
	s_clause 0x2
	s_load_b32 s6, s[0:1], 0x3c
	s_load_b64 s[4:5], s[0:1], 0x0
	s_load_b64 s[2:3], s[0:1], 0x10
	s_waitcnt lgkmcnt(0)
	s_and_b32 s6, s6, 0xffff
	s_delay_alu instid0(SALU_CYCLE_1) | instskip(SKIP_2) | instid1(VALU_DEP_1)
	v_mad_u64_u32 v[1:2], null, s15, s6, v[0:1]
	v_mov_b32_e32 v2, 0
	s_mov_b32 s6, exec_lo
	v_cmpx_ge_i64_e64 s[4:5], v[1:2]
	s_cbranch_execz .LBB33_2
; %bb.1:
	v_lshlrev_b64 v[2:3], 3, v[1:2]
	s_delay_alu instid0(VALU_DEP_1) | instskip(NEXT) | instid1(VALU_DEP_2)
	v_add_co_u32 v4, vcc_lo, s2, v2
	v_add_co_ci_u32_e32 v5, vcc_lo, s3, v3, vcc_lo
	global_load_b64 v[4:5], v[4:5], off
	s_clause 0x2
	s_load_b64 s[8:9], s[0:1], 0x20
	s_load_b32 s7, s[0:1], 0x8
	s_load_b32 s10, s[0:1], 0x18
	s_waitcnt lgkmcnt(0)
	v_add_co_u32 v2, vcc_lo, s8, v2
	s_sub_u32 s7, s10, s7
	v_add_co_ci_u32_e32 v3, vcc_lo, s9, v3, vcc_lo
	s_subb_u32 s8, 0, 0
	s_waitcnt vmcnt(0)
	v_add_co_u32 v4, vcc_lo, s7, v4
	v_add_co_ci_u32_e32 v5, vcc_lo, s8, v5, vcc_lo
	global_store_b64 v[2:3], v[4:5], off
.LBB33_2:
	s_or_b32 exec_lo, exec_lo, s6
	s_delay_alu instid0(SALU_CYCLE_1)
	s_mov_b32 s6, exec_lo
	v_cmpx_eq_u32_e32 0, v1
	s_cbranch_execz .LBB33_4
; %bb.3:
	s_lshl_b64 s[4:5], s[4:5], 3
	s_delay_alu instid0(SALU_CYCLE_1)
	s_add_u32 s4, s2, s4
	s_addc_u32 s5, s3, s5
	s_clause 0x1
	s_load_b64 s[4:5], s[4:5], 0x0
	s_load_b64 s[2:3], s[2:3], 0x0
	s_load_b64 s[0:1], s[0:1], 0x28
	s_waitcnt lgkmcnt(0)
	s_sub_u32 s2, s4, s2
	s_subb_u32 s3, s5, s3
	v_mov_b32_e32 v0, s2
	v_dual_mov_b32 v2, 0 :: v_dual_mov_b32 v1, s3
	global_store_b64 v2, v[0:1], s[0:1]
.LBB33_4:
	s_nop 0
	s_sendmsg sendmsg(MSG_DEALLOC_VGPRS)
	s_endpgm
	.section	.rodata,"a",@progbits
	.p2align	6, 0x0
	.amdhsa_kernel _ZN9rocsparseL39csr2bsr_nnz_block_dim_equals_one_kernelILj256EllEEvT1_21rocsparse_index_base_PKT0_S2_PS3_S6_
		.amdhsa_group_segment_fixed_size 0
		.amdhsa_private_segment_fixed_size 0
		.amdhsa_kernarg_size 304
		.amdhsa_user_sgpr_count 15
		.amdhsa_user_sgpr_dispatch_ptr 0
		.amdhsa_user_sgpr_queue_ptr 0
		.amdhsa_user_sgpr_kernarg_segment_ptr 1
		.amdhsa_user_sgpr_dispatch_id 0
		.amdhsa_user_sgpr_private_segment_size 0
		.amdhsa_wavefront_size32 1
		.amdhsa_uses_dynamic_stack 0
		.amdhsa_enable_private_segment 0
		.amdhsa_system_sgpr_workgroup_id_x 1
		.amdhsa_system_sgpr_workgroup_id_y 0
		.amdhsa_system_sgpr_workgroup_id_z 0
		.amdhsa_system_sgpr_workgroup_info 0
		.amdhsa_system_vgpr_workitem_id 0
		.amdhsa_next_free_vgpr 6
		.amdhsa_next_free_sgpr 16
		.amdhsa_reserve_vcc 1
		.amdhsa_float_round_mode_32 0
		.amdhsa_float_round_mode_16_64 0
		.amdhsa_float_denorm_mode_32 3
		.amdhsa_float_denorm_mode_16_64 3
		.amdhsa_dx10_clamp 1
		.amdhsa_ieee_mode 1
		.amdhsa_fp16_overflow 0
		.amdhsa_workgroup_processor_mode 1
		.amdhsa_memory_ordered 1
		.amdhsa_forward_progress 0
		.amdhsa_shared_vgpr_count 0
		.amdhsa_exception_fp_ieee_invalid_op 0
		.amdhsa_exception_fp_denorm_src 0
		.amdhsa_exception_fp_ieee_div_zero 0
		.amdhsa_exception_fp_ieee_overflow 0
		.amdhsa_exception_fp_ieee_underflow 0
		.amdhsa_exception_fp_ieee_inexact 0
		.amdhsa_exception_int_div_zero 0
	.end_amdhsa_kernel
	.section	.text._ZN9rocsparseL39csr2bsr_nnz_block_dim_equals_one_kernelILj256EllEEvT1_21rocsparse_index_base_PKT0_S2_PS3_S6_,"axG",@progbits,_ZN9rocsparseL39csr2bsr_nnz_block_dim_equals_one_kernelILj256EllEEvT1_21rocsparse_index_base_PKT0_S2_PS3_S6_,comdat
.Lfunc_end33:
	.size	_ZN9rocsparseL39csr2bsr_nnz_block_dim_equals_one_kernelILj256EllEEvT1_21rocsparse_index_base_PKT0_S2_PS3_S6_, .Lfunc_end33-_ZN9rocsparseL39csr2bsr_nnz_block_dim_equals_one_kernelILj256EllEEvT1_21rocsparse_index_base_PKT0_S2_PS3_S6_
                                        ; -- End function
	.section	.AMDGPU.csdata,"",@progbits
; Kernel info:
; codeLenInByte = 288
; NumSgprs: 18
; NumVgprs: 6
; ScratchSize: 0
; MemoryBound: 1
; FloatMode: 240
; IeeeMode: 1
; LDSByteSize: 0 bytes/workgroup (compile time only)
; SGPRBlocks: 2
; VGPRBlocks: 0
; NumSGPRsForWavesPerEU: 18
; NumVGPRsForWavesPerEU: 6
; Occupancy: 16
; WaveLimiterHint : 0
; COMPUTE_PGM_RSRC2:SCRATCH_EN: 0
; COMPUTE_PGM_RSRC2:USER_SGPR: 15
; COMPUTE_PGM_RSRC2:TRAP_HANDLER: 0
; COMPUTE_PGM_RSRC2:TGID_X_EN: 1
; COMPUTE_PGM_RSRC2:TGID_Y_EN: 0
; COMPUTE_PGM_RSRC2:TGID_Z_EN: 0
; COMPUTE_PGM_RSRC2:TIDIG_COMP_CNT: 0
	.section	.text._ZN9rocsparseL39csr2bsr_nnz_block_dim_equals_one_kernelILj256EllEEvT1_21rocsparse_index_base_PKT0_S2_PS3_,"axG",@progbits,_ZN9rocsparseL39csr2bsr_nnz_block_dim_equals_one_kernelILj256EllEEvT1_21rocsparse_index_base_PKT0_S2_PS3_,comdat
	.globl	_ZN9rocsparseL39csr2bsr_nnz_block_dim_equals_one_kernelILj256EllEEvT1_21rocsparse_index_base_PKT0_S2_PS3_ ; -- Begin function _ZN9rocsparseL39csr2bsr_nnz_block_dim_equals_one_kernelILj256EllEEvT1_21rocsparse_index_base_PKT0_S2_PS3_
	.p2align	8
	.type	_ZN9rocsparseL39csr2bsr_nnz_block_dim_equals_one_kernelILj256EllEEvT1_21rocsparse_index_base_PKT0_S2_PS3_,@function
_ZN9rocsparseL39csr2bsr_nnz_block_dim_equals_one_kernelILj256EllEEvT1_21rocsparse_index_base_PKT0_S2_PS3_: ; @_ZN9rocsparseL39csr2bsr_nnz_block_dim_equals_one_kernelILj256EllEEvT1_21rocsparse_index_base_PKT0_S2_PS3_
; %bb.0:
	s_load_b64 s[2:3], s[0:1], 0x0
	v_lshl_or_b32 v0, s15, 8, v0
	v_mov_b32_e32 v1, 0
	s_waitcnt lgkmcnt(0)
	s_delay_alu instid0(VALU_DEP_1)
	v_cmp_ge_i64_e32 vcc_lo, s[2:3], v[0:1]
	s_and_saveexec_b32 s2, vcc_lo
	s_cbranch_execz .LBB34_2
; %bb.1:
	s_load_b64 s[2:3], s[0:1], 0x10
	v_lshlrev_b64 v[0:1], 3, v[0:1]
	s_clause 0x2
	s_load_b32 s4, s[0:1], 0x18
	s_load_b32 s5, s[0:1], 0x8
	s_load_b64 s[0:1], s[0:1], 0x20
	s_waitcnt lgkmcnt(0)
	v_add_co_u32 v2, vcc_lo, s2, v0
	v_add_co_ci_u32_e32 v3, vcc_lo, s3, v1, vcc_lo
	v_add_co_u32 v0, vcc_lo, s0, v0
	s_sub_u32 s0, s4, s5
	global_load_b64 v[2:3], v[2:3], off
	v_add_co_ci_u32_e32 v1, vcc_lo, s1, v1, vcc_lo
	s_subb_u32 s1, 0, 0
	s_waitcnt vmcnt(0)
	v_add_co_u32 v2, vcc_lo, s0, v2
	v_add_co_ci_u32_e32 v3, vcc_lo, s1, v3, vcc_lo
	global_store_b64 v[0:1], v[2:3], off
.LBB34_2:
	s_nop 0
	s_sendmsg sendmsg(MSG_DEALLOC_VGPRS)
	s_endpgm
	.section	.rodata,"a",@progbits
	.p2align	6, 0x0
	.amdhsa_kernel _ZN9rocsparseL39csr2bsr_nnz_block_dim_equals_one_kernelILj256EllEEvT1_21rocsparse_index_base_PKT0_S2_PS3_
		.amdhsa_group_segment_fixed_size 0
		.amdhsa_private_segment_fixed_size 0
		.amdhsa_kernarg_size 40
		.amdhsa_user_sgpr_count 15
		.amdhsa_user_sgpr_dispatch_ptr 0
		.amdhsa_user_sgpr_queue_ptr 0
		.amdhsa_user_sgpr_kernarg_segment_ptr 1
		.amdhsa_user_sgpr_dispatch_id 0
		.amdhsa_user_sgpr_private_segment_size 0
		.amdhsa_wavefront_size32 1
		.amdhsa_uses_dynamic_stack 0
		.amdhsa_enable_private_segment 0
		.amdhsa_system_sgpr_workgroup_id_x 1
		.amdhsa_system_sgpr_workgroup_id_y 0
		.amdhsa_system_sgpr_workgroup_id_z 0
		.amdhsa_system_sgpr_workgroup_info 0
		.amdhsa_system_vgpr_workitem_id 0
		.amdhsa_next_free_vgpr 4
		.amdhsa_next_free_sgpr 16
		.amdhsa_reserve_vcc 1
		.amdhsa_float_round_mode_32 0
		.amdhsa_float_round_mode_16_64 0
		.amdhsa_float_denorm_mode_32 3
		.amdhsa_float_denorm_mode_16_64 3
		.amdhsa_dx10_clamp 1
		.amdhsa_ieee_mode 1
		.amdhsa_fp16_overflow 0
		.amdhsa_workgroup_processor_mode 1
		.amdhsa_memory_ordered 1
		.amdhsa_forward_progress 0
		.amdhsa_shared_vgpr_count 0
		.amdhsa_exception_fp_ieee_invalid_op 0
		.amdhsa_exception_fp_denorm_src 0
		.amdhsa_exception_fp_ieee_div_zero 0
		.amdhsa_exception_fp_ieee_overflow 0
		.amdhsa_exception_fp_ieee_underflow 0
		.amdhsa_exception_fp_ieee_inexact 0
		.amdhsa_exception_int_div_zero 0
	.end_amdhsa_kernel
	.section	.text._ZN9rocsparseL39csr2bsr_nnz_block_dim_equals_one_kernelILj256EllEEvT1_21rocsparse_index_base_PKT0_S2_PS3_,"axG",@progbits,_ZN9rocsparseL39csr2bsr_nnz_block_dim_equals_one_kernelILj256EllEEvT1_21rocsparse_index_base_PKT0_S2_PS3_,comdat
.Lfunc_end34:
	.size	_ZN9rocsparseL39csr2bsr_nnz_block_dim_equals_one_kernelILj256EllEEvT1_21rocsparse_index_base_PKT0_S2_PS3_, .Lfunc_end34-_ZN9rocsparseL39csr2bsr_nnz_block_dim_equals_one_kernelILj256EllEEvT1_21rocsparse_index_base_PKT0_S2_PS3_
                                        ; -- End function
	.section	.AMDGPU.csdata,"",@progbits
; Kernel info:
; codeLenInByte = 164
; NumSgprs: 18
; NumVgprs: 4
; ScratchSize: 0
; MemoryBound: 0
; FloatMode: 240
; IeeeMode: 1
; LDSByteSize: 0 bytes/workgroup (compile time only)
; SGPRBlocks: 2
; VGPRBlocks: 0
; NumSGPRsForWavesPerEU: 18
; NumVGPRsForWavesPerEU: 4
; Occupancy: 16
; WaveLimiterHint : 0
; COMPUTE_PGM_RSRC2:SCRATCH_EN: 0
; COMPUTE_PGM_RSRC2:USER_SGPR: 15
; COMPUTE_PGM_RSRC2:TRAP_HANDLER: 0
; COMPUTE_PGM_RSRC2:TGID_X_EN: 1
; COMPUTE_PGM_RSRC2:TGID_Y_EN: 0
; COMPUTE_PGM_RSRC2:TGID_Z_EN: 0
; COMPUTE_PGM_RSRC2:TIDIG_COMP_CNT: 0
	.section	.text._ZN9rocsparseL46csr2bsr_nnz_wavefront_per_row_multipass_kernelILj256ELj16ELj4EllEEvT3_S1_S1_S1_S1_21rocsparse_index_base_PKT2_PKS1_S2_PS3_,"axG",@progbits,_ZN9rocsparseL46csr2bsr_nnz_wavefront_per_row_multipass_kernelILj256ELj16ELj4EllEEvT3_S1_S1_S1_S1_21rocsparse_index_base_PKT2_PKS1_S2_PS3_,comdat
	.globl	_ZN9rocsparseL46csr2bsr_nnz_wavefront_per_row_multipass_kernelILj256ELj16ELj4EllEEvT3_S1_S1_S1_S1_21rocsparse_index_base_PKT2_PKS1_S2_PS3_ ; -- Begin function _ZN9rocsparseL46csr2bsr_nnz_wavefront_per_row_multipass_kernelILj256ELj16ELj4EllEEvT3_S1_S1_S1_S1_21rocsparse_index_base_PKT2_PKS1_S2_PS3_
	.p2align	8
	.type	_ZN9rocsparseL46csr2bsr_nnz_wavefront_per_row_multipass_kernelILj256ELj16ELj4EllEEvT3_S1_S1_S1_S1_21rocsparse_index_base_PKT2_PKS1_S2_PS3_,@function
_ZN9rocsparseL46csr2bsr_nnz_wavefront_per_row_multipass_kernelILj256ELj16ELj4EllEEvT3_S1_S1_S1_S1_21rocsparse_index_base_PKT2_PKS1_S2_PS3_: ; @_ZN9rocsparseL46csr2bsr_nnz_wavefront_per_row_multipass_kernelILj256ELj16ELj4EllEEvT3_S1_S1_S1_S1_21rocsparse_index_base_PKT2_PKS1_S2_PS3_
; %bb.0:
	s_load_b64 s[10:11], s[0:1], 0x20
	v_lshrrev_b32_e32 v17, 4, v0
	s_mov_b32 s8, s15
	s_ashr_i32 s9, s15, 31
	s_clause 0x1
	s_load_b64 s[14:15], s[0:1], 0x0
	s_load_b128 s[4:7], s[0:1], 0x10
	s_lshl_b64 s[2:3], s[8:9], 4
	v_mov_b32_e32 v6, 0
	v_or_b32_e32 v1, s2, v17
	v_bfe_u32 v5, v0, 2, 2
	s_clause 0x1
	s_load_b32 s9, s[0:1], 0x28
	s_load_b64 s[12:13], s[0:1], 0x30
	v_lshlrev_b32_e32 v18, 3, v17
	s_waitcnt lgkmcnt(0)
	v_mul_lo_u32 v7, v1, s11
	v_mad_u64_u32 v[3:4], null, v1, s10, v[5:6]
	v_mov_b32_e32 v1, 0
	s_mul_i32 s2, s3, s10
	v_mov_b32_e32 v2, 0
	s_delay_alu instid0(VALU_DEP_3) | instskip(SKIP_2) | instid1(VALU_DEP_4)
	v_add3_u32 v4, s2, v4, v7
	v_mov_b32_e32 v7, v6
	v_cmp_gt_i64_e64 s2, s[10:11], v[5:6]
	v_mov_b32_e32 v10, v2
	v_dual_mov_b32 v8, v6 :: v_dual_mov_b32 v9, v1
	v_cmp_gt_i64_e32 vcc_lo, s[14:15], v[3:4]
	ds_store_b64 v18, v[7:8]
	s_waitcnt lgkmcnt(0)
	s_barrier
	s_and_b32 s2, s2, vcc_lo
	buffer_gl0_inv
	s_and_saveexec_b32 s3, s2
	s_cbranch_execz .LBB35_2
; %bb.1:
	v_lshlrev_b64 v[5:6], 3, v[3:4]
	s_delay_alu instid0(VALU_DEP_1) | instskip(NEXT) | instid1(VALU_DEP_2)
	v_add_co_u32 v5, vcc_lo, s12, v5
	v_add_co_ci_u32_e32 v6, vcc_lo, s13, v6, vcc_lo
	global_load_b64 v[5:6], v[5:6], off
	s_waitcnt vmcnt(0)
	v_sub_co_u32 v9, vcc_lo, v5, s9
	v_subrev_co_ci_u32_e32 v10, vcc_lo, 0, v6, vcc_lo
.LBB35_2:
	s_or_b32 exec_lo, exec_lo, s3
	s_and_saveexec_b32 s3, s2
	s_cbranch_execz .LBB35_4
; %bb.3:
	v_lshlrev_b64 v[1:2], 3, v[3:4]
	s_delay_alu instid0(VALU_DEP_1) | instskip(NEXT) | instid1(VALU_DEP_2)
	v_add_co_u32 v1, vcc_lo, s12, v1
	v_add_co_ci_u32_e32 v2, vcc_lo, s13, v2, vcc_lo
	global_load_b64 v[1:2], v[1:2], off offset:8
	s_waitcnt vmcnt(0)
	v_sub_co_u32 v1, vcc_lo, v1, s9
	v_subrev_co_ci_u32_e32 v2, vcc_lo, 0, v2, vcc_lo
.LBB35_4:
	s_or_b32 exec_lo, exec_lo, s3
	v_cmp_lt_i64_e64 s2, s[6:7], 1
	v_and_b32_e32 v19, 15, v0
	s_delay_alu instid0(VALU_DEP_2) | instskip(NEXT) | instid1(VALU_DEP_1)
	s_and_b32 vcc_lo, exec_lo, s2
	v_cmp_eq_u32_e64 s2, 0, v19
	s_cbranch_vccnz .LBB35_22
; %bb.5:
	v_mbcnt_lo_u32_b32 v4, -1, 0
	s_load_b64 s[12:13], s[0:1], 0x38
	v_dual_mov_b32 v3, 0 :: v_dual_and_b32 v0, 3, v0
	s_mov_b32 s18, 0
	s_delay_alu instid0(VALU_DEP_2)
	v_xor_b32_e32 v5, 2, v4
	v_xor_b32_e32 v6, 1, v4
	;; [unrolled: 1-line block ×4, first 2 shown]
	s_ashr_i32 s14, s11, 31
	v_cmp_gt_i32_e32 vcc_lo, 32, v5
	s_sub_i32 s19, 0, s10
	v_dual_mov_b32 v26, 1 :: v_dual_lshlrev_b32 v11, 2, v4
	v_cndmask_b32_e32 v5, v4, v5, vcc_lo
	v_cmp_gt_i32_e32 vcc_lo, 32, v6
	s_delay_alu instid0(VALU_DEP_3) | instskip(SKIP_3) | instid1(VALU_DEP_2)
	v_or_b32_e32 v22, 12, v11
	v_or_b32_e32 v25, 60, v11
	v_cndmask_b32_e32 v6, v4, v6, vcc_lo
	v_cmp_gt_i32_e32 vcc_lo, 32, v7
	v_lshlrev_b32_e32 v21, 2, v6
	v_cndmask_b32_e32 v7, v4, v7, vcc_lo
	v_cmp_gt_i32_e32 vcc_lo, 32, v8
	v_cndmask_b32_e32 v4, v4, v8, vcc_lo
	s_delay_alu instid0(VALU_DEP_1)
	v_lshlrev_b32_e32 v24, 2, v4
	v_lshlrev_b32_e32 v20, 2, v5
	;; [unrolled: 1-line block ×3, first 2 shown]
	v_mov_b32_e32 v7, 0
	v_mov_b32_e32 v8, 0
	s_branch .LBB35_7
.LBB35_6:                               ;   in Loop: Header=BB35_7 Depth=1
	s_or_b32 exec_lo, exec_lo, s3
	ds_bpermute_b32 v7, v23, v5
	ds_bpermute_b32 v8, v23, v6
	s_waitcnt lgkmcnt(0)
	buffer_gl0_inv
	v_cmp_lt_i64_e32 vcc_lo, v[7:8], v[5:6]
	v_dual_cndmask_b32 v6, v6, v8 :: v_dual_cndmask_b32 v5, v5, v7
	ds_bpermute_b32 v8, v24, v6
	ds_bpermute_b32 v7, v24, v5
	s_waitcnt lgkmcnt(0)
	v_cmp_lt_i64_e32 vcc_lo, v[7:8], v[5:6]
	v_dual_cndmask_b32 v6, v6, v8 :: v_dual_cndmask_b32 v5, v5, v7
	ds_bpermute_b32 v8, v20, v6
	ds_bpermute_b32 v7, v20, v5
	s_waitcnt lgkmcnt(0)
	;; [unrolled: 5-line block ×4, first 2 shown]
	v_cmp_le_i64_e32 vcc_lo, s[6:7], v[7:8]
	s_or_b32 s18, vcc_lo, s18
	s_delay_alu instid0(SALU_CYCLE_1)
	s_and_not1_b32 exec_lo, exec_lo, s18
	s_cbranch_execz .LBB35_21
.LBB35_7:                               ; =>This Loop Header: Depth=1
                                        ;     Child Loop BB35_10 Depth 2
	v_add_co_u32 v9, vcc_lo, v9, v0
	v_add_co_ci_u32_e32 v10, vcc_lo, 0, v10, vcc_lo
	v_dual_mov_b32 v5, s6 :: v_dual_mov_b32 v6, s7
	v_dual_mov_b32 v16, v2 :: v_dual_mov_b32 v15, v1
	s_mov_b32 s20, exec_lo
	ds_store_b8 v17, v3 offset:128
	s_waitcnt lgkmcnt(0)
	buffer_gl0_inv
	v_cmpx_lt_i64_e64 v[9:10], v[1:2]
	s_cbranch_execz .LBB35_19
; %bb.8:                                ;   in Loop: Header=BB35_7 Depth=1
	v_lshlrev_b64 v[11:12], 3, v[9:10]
	v_dual_mov_b32 v5, s6 :: v_dual_mov_b32 v6, s7
	v_dual_mov_b32 v14, v2 :: v_dual_mov_b32 v13, v1
	s_mov_b32 s21, 0
	s_delay_alu instid0(VALU_DEP_3) | instskip(NEXT) | instid1(VALU_DEP_4)
	v_add_co_u32 v11, vcc_lo, s12, v11
	v_add_co_ci_u32_e32 v12, vcc_lo, s13, v12, vcc_lo
	s_branch .LBB35_10
.LBB35_9:                               ;   in Loop: Header=BB35_10 Depth=2
	s_or_b32 exec_lo, exec_lo, s3
	v_add_co_u32 v9, s3, v9, 4
	s_delay_alu instid0(VALU_DEP_1) | instskip(SKIP_2) | instid1(VALU_DEP_2)
	v_add_co_ci_u32_e64 v10, s3, 0, v10, s3
	s_xor_b32 s15, vcc_lo, -1
	v_add_co_u32 v11, vcc_lo, v11, 32
	v_cmp_ge_i64_e64 s3, v[9:10], v[1:2]
	v_add_co_ci_u32_e32 v12, vcc_lo, 0, v12, vcc_lo
	v_dual_mov_b32 v13, v15 :: v_dual_mov_b32 v14, v16
	s_delay_alu instid0(VALU_DEP_3) | instskip(NEXT) | instid1(SALU_CYCLE_1)
	s_or_b32 s3, s15, s3
	s_and_b32 s3, exec_lo, s3
	s_delay_alu instid0(SALU_CYCLE_1) | instskip(NEXT) | instid1(SALU_CYCLE_1)
	s_or_b32 s21, s3, s21
	s_and_not1_b32 exec_lo, exec_lo, s21
	s_cbranch_execz .LBB35_18
.LBB35_10:                              ;   Parent Loop BB35_7 Depth=1
                                        ; =>  This Inner Loop Header: Depth=2
	global_load_b64 v[15:16], v[11:12], off
	s_mov_b32 s3, exec_lo
	s_waitcnt vmcnt(0)
	v_sub_co_u32 v27, vcc_lo, v15, s9
	v_subrev_co_ci_u32_e32 v28, vcc_lo, 0, v16, vcc_lo
                                        ; implicit-def: $vgpr15_vgpr16
	s_delay_alu instid0(VALU_DEP_1) | instskip(NEXT) | instid1(VALU_DEP_1)
	v_or_b32_e32 v4, s11, v28
	v_cmpx_ne_u64_e32 0, v[3:4]
	s_xor_b32 s22, exec_lo, s3
	s_cbranch_execz .LBB35_12
; %bb.11:                               ;   in Loop: Header=BB35_10 Depth=2
	s_add_u32 s16, s10, s14
	s_mov_b32 s15, s14
	s_addc_u32 s17, s11, s14
	s_delay_alu instid0(SALU_CYCLE_1) | instskip(NEXT) | instid1(SALU_CYCLE_1)
	s_xor_b64 s[16:17], s[16:17], s[14:15]
	v_cvt_f32_u32_e32 v4, s16
	v_cvt_f32_u32_e32 v15, s17
	s_sub_u32 s3, 0, s16
	s_subb_u32 s15, 0, s17
	s_delay_alu instid0(VALU_DEP_1) | instskip(NEXT) | instid1(VALU_DEP_1)
	v_fmac_f32_e32 v4, 0x4f800000, v15
	v_rcp_f32_e32 v4, v4
	s_waitcnt_depctr 0xfff
	v_mul_f32_e32 v4, 0x5f7ffffc, v4
	s_delay_alu instid0(VALU_DEP_1) | instskip(NEXT) | instid1(VALU_DEP_1)
	v_mul_f32_e32 v15, 0x2f800000, v4
	v_trunc_f32_e32 v15, v15
	s_delay_alu instid0(VALU_DEP_1) | instskip(SKIP_1) | instid1(VALU_DEP_2)
	v_fmac_f32_e32 v4, 0xcf800000, v15
	v_cvt_u32_f32_e32 v15, v15
	v_cvt_u32_f32_e32 v4, v4
	s_delay_alu instid0(VALU_DEP_2) | instskip(NEXT) | instid1(VALU_DEP_2)
	v_mul_lo_u32 v16, s3, v15
	v_mul_hi_u32 v29, s3, v4
	v_mul_lo_u32 v30, s15, v4
	s_delay_alu instid0(VALU_DEP_2) | instskip(SKIP_1) | instid1(VALU_DEP_2)
	v_add_nc_u32_e32 v16, v29, v16
	v_mul_lo_u32 v29, s3, v4
	v_add_nc_u32_e32 v16, v16, v30
	s_delay_alu instid0(VALU_DEP_2) | instskip(NEXT) | instid1(VALU_DEP_2)
	v_mul_hi_u32 v30, v4, v29
	v_mul_lo_u32 v31, v4, v16
	v_mul_hi_u32 v32, v4, v16
	v_mul_hi_u32 v33, v15, v29
	v_mul_lo_u32 v29, v15, v29
	v_mul_hi_u32 v34, v15, v16
	v_mul_lo_u32 v16, v15, v16
	v_add_co_u32 v30, vcc_lo, v30, v31
	v_add_co_ci_u32_e32 v31, vcc_lo, 0, v32, vcc_lo
	s_delay_alu instid0(VALU_DEP_2) | instskip(NEXT) | instid1(VALU_DEP_2)
	v_add_co_u32 v29, vcc_lo, v30, v29
	v_add_co_ci_u32_e32 v29, vcc_lo, v31, v33, vcc_lo
	v_add_co_ci_u32_e32 v30, vcc_lo, 0, v34, vcc_lo
	v_ashrrev_i32_e32 v33, 31, v28
	s_delay_alu instid0(VALU_DEP_3) | instskip(NEXT) | instid1(VALU_DEP_3)
	v_add_co_u32 v16, vcc_lo, v29, v16
	v_add_co_ci_u32_e32 v29, vcc_lo, 0, v30, vcc_lo
	s_delay_alu instid0(VALU_DEP_2) | instskip(NEXT) | instid1(VALU_DEP_2)
	v_add_co_u32 v4, vcc_lo, v4, v16
	v_add_co_ci_u32_e32 v15, vcc_lo, v15, v29, vcc_lo
	s_delay_alu instid0(VALU_DEP_2) | instskip(SKIP_1) | instid1(VALU_DEP_3)
	v_mul_hi_u32 v16, s3, v4
	v_mul_lo_u32 v30, s15, v4
	v_mul_lo_u32 v29, s3, v15
	s_delay_alu instid0(VALU_DEP_1) | instskip(SKIP_1) | instid1(VALU_DEP_2)
	v_add_nc_u32_e32 v16, v16, v29
	v_mul_lo_u32 v29, s3, v4
	v_add_nc_u32_e32 v16, v16, v30
	s_delay_alu instid0(VALU_DEP_2) | instskip(NEXT) | instid1(VALU_DEP_2)
	v_mul_hi_u32 v30, v4, v29
	v_mul_lo_u32 v31, v4, v16
	v_mul_hi_u32 v32, v4, v16
	v_mul_hi_u32 v34, v15, v29
	v_mul_lo_u32 v29, v15, v29
	v_mul_hi_u32 v35, v15, v16
	v_mul_lo_u32 v16, v15, v16
	v_add_co_u32 v30, vcc_lo, v30, v31
	v_add_co_ci_u32_e32 v31, vcc_lo, 0, v32, vcc_lo
	s_delay_alu instid0(VALU_DEP_2) | instskip(NEXT) | instid1(VALU_DEP_2)
	v_add_co_u32 v29, vcc_lo, v30, v29
	v_add_co_ci_u32_e32 v29, vcc_lo, v31, v34, vcc_lo
	v_add_co_ci_u32_e32 v30, vcc_lo, 0, v35, vcc_lo
	v_add_co_u32 v27, vcc_lo, v27, v33
	v_add_co_ci_u32_e32 v28, vcc_lo, v28, v33, vcc_lo
	s_delay_alu instid0(VALU_DEP_4) | instskip(NEXT) | instid1(VALU_DEP_4)
	v_add_co_u32 v16, vcc_lo, v29, v16
	v_add_co_ci_u32_e32 v29, vcc_lo, 0, v30, vcc_lo
	s_delay_alu instid0(VALU_DEP_4) | instskip(NEXT) | instid1(VALU_DEP_3)
	v_xor_b32_e32 v31, v27, v33
	v_add_co_u32 v4, vcc_lo, v4, v16
	s_delay_alu instid0(VALU_DEP_3) | instskip(SKIP_1) | instid1(VALU_DEP_3)
	v_add_co_ci_u32_e32 v32, vcc_lo, v15, v29, vcc_lo
	v_xor_b32_e32 v34, v28, v33
	v_mul_hi_u32 v35, v31, v4
	s_delay_alu instid0(VALU_DEP_3) | instskip(NEXT) | instid1(VALU_DEP_3)
	v_mad_u64_u32 v[15:16], null, v31, v32, 0
	v_mad_u64_u32 v[27:28], null, v34, v4, 0
	;; [unrolled: 1-line block ×3, first 2 shown]
	s_delay_alu instid0(VALU_DEP_3) | instskip(NEXT) | instid1(VALU_DEP_4)
	v_add_co_u32 v4, vcc_lo, v35, v15
	v_add_co_ci_u32_e32 v15, vcc_lo, 0, v16, vcc_lo
	s_delay_alu instid0(VALU_DEP_2) | instskip(NEXT) | instid1(VALU_DEP_2)
	v_add_co_u32 v4, vcc_lo, v4, v27
	v_add_co_ci_u32_e32 v4, vcc_lo, v15, v28, vcc_lo
	v_add_co_ci_u32_e32 v15, vcc_lo, 0, v30, vcc_lo
	s_delay_alu instid0(VALU_DEP_2) | instskip(NEXT) | instid1(VALU_DEP_2)
	v_add_co_u32 v4, vcc_lo, v4, v29
	v_add_co_ci_u32_e32 v27, vcc_lo, 0, v15, vcc_lo
	s_delay_alu instid0(VALU_DEP_2) | instskip(SKIP_1) | instid1(VALU_DEP_3)
	v_mul_lo_u32 v28, s17, v4
	v_mad_u64_u32 v[15:16], null, s16, v4, 0
	v_mul_lo_u32 v29, s16, v27
	s_delay_alu instid0(VALU_DEP_2) | instskip(NEXT) | instid1(VALU_DEP_2)
	v_sub_co_u32 v15, vcc_lo, v31, v15
	v_add3_u32 v16, v16, v29, v28
	s_delay_alu instid0(VALU_DEP_1) | instskip(NEXT) | instid1(VALU_DEP_1)
	v_sub_nc_u32_e32 v28, v34, v16
	v_subrev_co_ci_u32_e64 v28, s3, s17, v28, vcc_lo
	v_add_co_u32 v29, s3, v4, 2
	s_delay_alu instid0(VALU_DEP_1) | instskip(SKIP_3) | instid1(VALU_DEP_3)
	v_add_co_ci_u32_e64 v30, s3, 0, v27, s3
	v_sub_co_u32 v31, s3, v15, s16
	v_sub_co_ci_u32_e32 v16, vcc_lo, v34, v16, vcc_lo
	v_subrev_co_ci_u32_e64 v28, s3, 0, v28, s3
	v_cmp_le_u32_e32 vcc_lo, s16, v31
	s_delay_alu instid0(VALU_DEP_3) | instskip(SKIP_1) | instid1(VALU_DEP_4)
	v_cmp_eq_u32_e64 s3, s17, v16
	v_cndmask_b32_e64 v31, 0, -1, vcc_lo
	v_cmp_le_u32_e32 vcc_lo, s17, v28
	v_cndmask_b32_e64 v32, 0, -1, vcc_lo
	v_cmp_le_u32_e32 vcc_lo, s16, v15
	;; [unrolled: 2-line block ×3, first 2 shown]
	v_cndmask_b32_e64 v34, 0, -1, vcc_lo
	v_cmp_eq_u32_e32 vcc_lo, s17, v28
	s_delay_alu instid0(VALU_DEP_2) | instskip(SKIP_3) | instid1(VALU_DEP_3)
	v_cndmask_b32_e64 v15, v34, v15, s3
	v_cndmask_b32_e32 v28, v32, v31, vcc_lo
	v_add_co_u32 v31, vcc_lo, v4, 1
	v_add_co_ci_u32_e32 v32, vcc_lo, 0, v27, vcc_lo
	v_cmp_ne_u32_e32 vcc_lo, 0, v28
	s_delay_alu instid0(VALU_DEP_2) | instskip(NEXT) | instid1(VALU_DEP_4)
	v_cndmask_b32_e32 v16, v32, v30, vcc_lo
	v_cndmask_b32_e32 v28, v31, v29, vcc_lo
	v_cmp_ne_u32_e32 vcc_lo, 0, v15
	v_xor_b32_e32 v29, s14, v33
	s_delay_alu instid0(VALU_DEP_3) | instskip(SKIP_1) | instid1(VALU_DEP_2)
	v_cndmask_b32_e32 v4, v4, v28, vcc_lo
	v_cndmask_b32_e32 v15, v27, v16, vcc_lo
                                        ; implicit-def: $vgpr27
	v_xor_b32_e32 v4, v4, v29
	s_delay_alu instid0(VALU_DEP_2) | instskip(NEXT) | instid1(VALU_DEP_2)
	v_xor_b32_e32 v16, v15, v29
	v_sub_co_u32 v15, vcc_lo, v4, v29
	s_delay_alu instid0(VALU_DEP_2)
	v_sub_co_ci_u32_e32 v16, vcc_lo, v16, v29, vcc_lo
.LBB35_12:                              ;   in Loop: Header=BB35_10 Depth=2
	s_and_not1_saveexec_b32 s3, s22
	s_cbranch_execz .LBB35_14
; %bb.13:                               ;   in Loop: Header=BB35_10 Depth=2
	v_cvt_f32_u32_e32 v4, s10
	s_delay_alu instid0(VALU_DEP_1) | instskip(SKIP_2) | instid1(VALU_DEP_1)
	v_rcp_iflag_f32_e32 v4, v4
	s_waitcnt_depctr 0xfff
	v_mul_f32_e32 v4, 0x4f7ffffe, v4
	v_cvt_u32_f32_e32 v4, v4
	s_delay_alu instid0(VALU_DEP_1) | instskip(NEXT) | instid1(VALU_DEP_1)
	v_mul_lo_u32 v15, s19, v4
	v_mul_hi_u32 v15, v4, v15
	s_delay_alu instid0(VALU_DEP_1) | instskip(NEXT) | instid1(VALU_DEP_1)
	v_add_nc_u32_e32 v4, v4, v15
	v_mul_hi_u32 v4, v27, v4
	s_delay_alu instid0(VALU_DEP_1) | instskip(SKIP_1) | instid1(VALU_DEP_2)
	v_mul_lo_u32 v15, v4, s10
	v_add_nc_u32_e32 v16, 1, v4
	v_sub_nc_u32_e32 v15, v27, v15
	s_delay_alu instid0(VALU_DEP_1) | instskip(SKIP_1) | instid1(VALU_DEP_2)
	v_subrev_nc_u32_e32 v27, s10, v15
	v_cmp_le_u32_e32 vcc_lo, s10, v15
	v_dual_cndmask_b32 v15, v15, v27 :: v_dual_cndmask_b32 v4, v4, v16
	s_delay_alu instid0(VALU_DEP_1) | instskip(NEXT) | instid1(VALU_DEP_2)
	v_cmp_le_u32_e32 vcc_lo, s10, v15
	v_add_nc_u32_e32 v16, 1, v4
	s_delay_alu instid0(VALU_DEP_1)
	v_dual_cndmask_b32 v15, v4, v16 :: v_dual_mov_b32 v16, v3
.LBB35_14:                              ;   in Loop: Header=BB35_10 Depth=2
	s_or_b32 exec_lo, exec_lo, s3
	s_delay_alu instid0(VALU_DEP_1)
	v_cmp_eq_u64_e32 vcc_lo, v[15:16], v[7:8]
	s_mov_b32 s15, exec_lo
	v_cmpx_ne_u64_e64 v[15:16], v[7:8]
	s_xor_b32 s15, exec_lo, s15
; %bb.15:                               ;   in Loop: Header=BB35_10 Depth=2
	v_cmp_lt_i64_e64 s3, v[15:16], v[5:6]
                                        ; implicit-def: $vgpr13_vgpr14
	s_delay_alu instid0(VALU_DEP_1)
	v_cndmask_b32_e64 v6, v6, v16, s3
	v_cndmask_b32_e64 v5, v5, v15, s3
; %bb.16:                               ;   in Loop: Header=BB35_10 Depth=2
	s_or_saveexec_b32 s3, s15
	v_dual_mov_b32 v16, v10 :: v_dual_mov_b32 v15, v9
	s_xor_b32 exec_lo, exec_lo, s3
	s_cbranch_execz .LBB35_9
; %bb.17:                               ;   in Loop: Header=BB35_10 Depth=2
	v_dual_mov_b32 v16, v14 :: v_dual_mov_b32 v15, v13
	ds_store_b8 v17, v26 offset:128
	s_branch .LBB35_9
.LBB35_18:                              ;   in Loop: Header=BB35_7 Depth=1
	s_or_b32 exec_lo, exec_lo, s21
.LBB35_19:                              ;   in Loop: Header=BB35_7 Depth=1
	s_delay_alu instid0(SALU_CYCLE_1)
	s_or_b32 exec_lo, exec_lo, s20
	ds_bpermute_b32 v7, v20, v15
	ds_bpermute_b32 v8, v20, v16
	s_waitcnt lgkmcnt(0)
	buffer_gl0_inv
	ds_load_u8 v4, v17 offset:128
	v_cmp_lt_i64_e32 vcc_lo, v[7:8], v[15:16]
	s_waitcnt lgkmcnt(0)
	v_and_b32_e32 v4, 1, v4
	v_dual_cndmask_b32 v8, v16, v8 :: v_dual_cndmask_b32 v7, v15, v7
	ds_bpermute_b32 v10, v21, v8
	ds_bpermute_b32 v9, v21, v7
	s_waitcnt lgkmcnt(0)
	v_cmp_lt_i64_e32 vcc_lo, v[9:10], v[7:8]
	v_dual_cndmask_b32 v8, v8, v10 :: v_dual_cndmask_b32 v7, v7, v9
	v_cmp_eq_u32_e32 vcc_lo, 1, v4
	ds_bpermute_b32 v10, v22, v8
	ds_bpermute_b32 v9, v22, v7
	s_and_b32 s15, s2, vcc_lo
	s_delay_alu instid0(SALU_CYCLE_1)
	s_and_saveexec_b32 s3, s15
	s_cbranch_execz .LBB35_6
; %bb.20:                               ;   in Loop: Header=BB35_7 Depth=1
	ds_load_b64 v[7:8], v18
	s_waitcnt lgkmcnt(0)
	v_add_co_u32 v7, vcc_lo, v7, 1
	v_add_co_ci_u32_e32 v8, vcc_lo, 0, v8, vcc_lo
	ds_store_b64 v18, v[7:8]
	s_branch .LBB35_6
.LBB35_21:
	s_or_b32 exec_lo, exec_lo, s18
.LBB35_22:
	s_delay_alu instid0(SALU_CYCLE_1)
	s_mov_b32 s2, exec_lo
	v_cmpx_eq_u32_e32 0, v19
	s_cbranch_execz .LBB35_25
; %bb.23:
	s_clause 0x1
	s_load_b32 s2, s[0:1], 0x40
	s_load_b64 s[0:1], s[0:1], 0x48
	s_waitcnt lgkmcnt(0)
	v_dual_mov_b32 v1, 0 :: v_dual_mov_b32 v0, s2
	global_store_b64 v1, v[0:1], s[0:1]
	v_lshl_or_b32 v0, s8, 4, v17
	s_delay_alu instid0(VALU_DEP_1)
	v_cmp_gt_i64_e32 vcc_lo, s[4:5], v[0:1]
	s_and_b32 exec_lo, exec_lo, vcc_lo
	s_cbranch_execz .LBB35_25
; %bb.24:
	ds_load_b64 v[2:3], v18
	v_add_nc_u32_e32 v0, 1, v0
	s_delay_alu instid0(VALU_DEP_1) | instskip(NEXT) | instid1(VALU_DEP_1)
	v_lshlrev_b64 v[0:1], 3, v[0:1]
	v_add_co_u32 v0, vcc_lo, s0, v0
	s_delay_alu instid0(VALU_DEP_2)
	v_add_co_ci_u32_e32 v1, vcc_lo, s1, v1, vcc_lo
	s_waitcnt lgkmcnt(0)
	global_store_b64 v[0:1], v[2:3], off
.LBB35_25:
	s_nop 0
	s_sendmsg sendmsg(MSG_DEALLOC_VGPRS)
	s_endpgm
	.section	.rodata,"a",@progbits
	.p2align	6, 0x0
	.amdhsa_kernel _ZN9rocsparseL46csr2bsr_nnz_wavefront_per_row_multipass_kernelILj256ELj16ELj4EllEEvT3_S1_S1_S1_S1_21rocsparse_index_base_PKT2_PKS1_S2_PS3_
		.amdhsa_group_segment_fixed_size 144
		.amdhsa_private_segment_fixed_size 0
		.amdhsa_kernarg_size 80
		.amdhsa_user_sgpr_count 15
		.amdhsa_user_sgpr_dispatch_ptr 0
		.amdhsa_user_sgpr_queue_ptr 0
		.amdhsa_user_sgpr_kernarg_segment_ptr 1
		.amdhsa_user_sgpr_dispatch_id 0
		.amdhsa_user_sgpr_private_segment_size 0
		.amdhsa_wavefront_size32 1
		.amdhsa_uses_dynamic_stack 0
		.amdhsa_enable_private_segment 0
		.amdhsa_system_sgpr_workgroup_id_x 1
		.amdhsa_system_sgpr_workgroup_id_y 0
		.amdhsa_system_sgpr_workgroup_id_z 0
		.amdhsa_system_sgpr_workgroup_info 0
		.amdhsa_system_vgpr_workitem_id 0
		.amdhsa_next_free_vgpr 36
		.amdhsa_next_free_sgpr 23
		.amdhsa_reserve_vcc 1
		.amdhsa_float_round_mode_32 0
		.amdhsa_float_round_mode_16_64 0
		.amdhsa_float_denorm_mode_32 3
		.amdhsa_float_denorm_mode_16_64 3
		.amdhsa_dx10_clamp 1
		.amdhsa_ieee_mode 1
		.amdhsa_fp16_overflow 0
		.amdhsa_workgroup_processor_mode 1
		.amdhsa_memory_ordered 1
		.amdhsa_forward_progress 0
		.amdhsa_shared_vgpr_count 0
		.amdhsa_exception_fp_ieee_invalid_op 0
		.amdhsa_exception_fp_denorm_src 0
		.amdhsa_exception_fp_ieee_div_zero 0
		.amdhsa_exception_fp_ieee_overflow 0
		.amdhsa_exception_fp_ieee_underflow 0
		.amdhsa_exception_fp_ieee_inexact 0
		.amdhsa_exception_int_div_zero 0
	.end_amdhsa_kernel
	.section	.text._ZN9rocsparseL46csr2bsr_nnz_wavefront_per_row_multipass_kernelILj256ELj16ELj4EllEEvT3_S1_S1_S1_S1_21rocsparse_index_base_PKT2_PKS1_S2_PS3_,"axG",@progbits,_ZN9rocsparseL46csr2bsr_nnz_wavefront_per_row_multipass_kernelILj256ELj16ELj4EllEEvT3_S1_S1_S1_S1_21rocsparse_index_base_PKT2_PKS1_S2_PS3_,comdat
.Lfunc_end35:
	.size	_ZN9rocsparseL46csr2bsr_nnz_wavefront_per_row_multipass_kernelILj256ELj16ELj4EllEEvT3_S1_S1_S1_S1_21rocsparse_index_base_PKT2_PKS1_S2_PS3_, .Lfunc_end35-_ZN9rocsparseL46csr2bsr_nnz_wavefront_per_row_multipass_kernelILj256ELj16ELj4EllEEvT3_S1_S1_S1_S1_21rocsparse_index_base_PKT2_PKS1_S2_PS3_
                                        ; -- End function
	.section	.AMDGPU.csdata,"",@progbits
; Kernel info:
; codeLenInByte = 2272
; NumSgprs: 25
; NumVgprs: 36
; ScratchSize: 0
; MemoryBound: 0
; FloatMode: 240
; IeeeMode: 1
; LDSByteSize: 144 bytes/workgroup (compile time only)
; SGPRBlocks: 3
; VGPRBlocks: 4
; NumSGPRsForWavesPerEU: 25
; NumVGPRsForWavesPerEU: 36
; Occupancy: 16
; WaveLimiterHint : 0
; COMPUTE_PGM_RSRC2:SCRATCH_EN: 0
; COMPUTE_PGM_RSRC2:USER_SGPR: 15
; COMPUTE_PGM_RSRC2:TRAP_HANDLER: 0
; COMPUTE_PGM_RSRC2:TGID_X_EN: 1
; COMPUTE_PGM_RSRC2:TGID_Y_EN: 0
; COMPUTE_PGM_RSRC2:TGID_Z_EN: 0
; COMPUTE_PGM_RSRC2:TIDIG_COMP_CNT: 0
	.section	.text._ZN9rocsparseL46csr2bsr_nnz_wavefront_per_row_multipass_kernelILj256ELj64ELj8EllEEvT3_S1_S1_S1_S1_21rocsparse_index_base_PKT2_PKS1_S2_PS3_,"axG",@progbits,_ZN9rocsparseL46csr2bsr_nnz_wavefront_per_row_multipass_kernelILj256ELj64ELj8EllEEvT3_S1_S1_S1_S1_21rocsparse_index_base_PKT2_PKS1_S2_PS3_,comdat
	.globl	_ZN9rocsparseL46csr2bsr_nnz_wavefront_per_row_multipass_kernelILj256ELj64ELj8EllEEvT3_S1_S1_S1_S1_21rocsparse_index_base_PKT2_PKS1_S2_PS3_ ; -- Begin function _ZN9rocsparseL46csr2bsr_nnz_wavefront_per_row_multipass_kernelILj256ELj64ELj8EllEEvT3_S1_S1_S1_S1_21rocsparse_index_base_PKT2_PKS1_S2_PS3_
	.p2align	8
	.type	_ZN9rocsparseL46csr2bsr_nnz_wavefront_per_row_multipass_kernelILj256ELj64ELj8EllEEvT3_S1_S1_S1_S1_21rocsparse_index_base_PKT2_PKS1_S2_PS3_,@function
_ZN9rocsparseL46csr2bsr_nnz_wavefront_per_row_multipass_kernelILj256ELj64ELj8EllEEvT3_S1_S1_S1_S1_21rocsparse_index_base_PKT2_PKS1_S2_PS3_: ; @_ZN9rocsparseL46csr2bsr_nnz_wavefront_per_row_multipass_kernelILj256ELj64ELj8EllEEvT3_S1_S1_S1_S1_21rocsparse_index_base_PKT2_PKS1_S2_PS3_
; %bb.0:
	s_load_b64 s[10:11], s[0:1], 0x20
	v_lshrrev_b32_e32 v17, 6, v0
	s_mov_b32 s8, s15
	s_ashr_i32 s9, s15, 31
	s_clause 0x1
	s_load_b64 s[14:15], s[0:1], 0x0
	s_load_b128 s[4:7], s[0:1], 0x10
	s_lshl_b64 s[2:3], s[8:9], 2
	v_mov_b32_e32 v6, 0
	v_or_b32_e32 v1, s2, v17
	v_bfe_u32 v5, v0, 3, 3
	s_clause 0x1
	s_load_b32 s9, s[0:1], 0x28
	s_load_b64 s[12:13], s[0:1], 0x30
	v_lshlrev_b32_e32 v18, 3, v17
	s_waitcnt lgkmcnt(0)
	v_mul_lo_u32 v7, v1, s11
	v_mad_u64_u32 v[3:4], null, v1, s10, v[5:6]
	v_mov_b32_e32 v1, 0
	s_mul_i32 s2, s3, s10
	v_mov_b32_e32 v2, 0
	s_delay_alu instid0(VALU_DEP_3) | instskip(SKIP_2) | instid1(VALU_DEP_4)
	v_add3_u32 v4, s2, v4, v7
	v_mov_b32_e32 v7, v6
	v_cmp_gt_i64_e64 s2, s[10:11], v[5:6]
	v_mov_b32_e32 v10, v2
	v_dual_mov_b32 v8, v6 :: v_dual_mov_b32 v9, v1
	v_cmp_gt_i64_e32 vcc_lo, s[14:15], v[3:4]
	ds_store_b64 v18, v[7:8]
	s_waitcnt lgkmcnt(0)
	s_barrier
	s_and_b32 s2, s2, vcc_lo
	buffer_gl0_inv
	s_and_saveexec_b32 s3, s2
	s_cbranch_execz .LBB36_2
; %bb.1:
	v_lshlrev_b64 v[5:6], 3, v[3:4]
	s_delay_alu instid0(VALU_DEP_1) | instskip(NEXT) | instid1(VALU_DEP_2)
	v_add_co_u32 v5, vcc_lo, s12, v5
	v_add_co_ci_u32_e32 v6, vcc_lo, s13, v6, vcc_lo
	global_load_b64 v[5:6], v[5:6], off
	s_waitcnt vmcnt(0)
	v_sub_co_u32 v9, vcc_lo, v5, s9
	v_subrev_co_ci_u32_e32 v10, vcc_lo, 0, v6, vcc_lo
.LBB36_2:
	s_or_b32 exec_lo, exec_lo, s3
	s_and_saveexec_b32 s3, s2
	s_cbranch_execz .LBB36_4
; %bb.3:
	v_lshlrev_b64 v[1:2], 3, v[3:4]
	s_delay_alu instid0(VALU_DEP_1) | instskip(NEXT) | instid1(VALU_DEP_2)
	v_add_co_u32 v1, vcc_lo, s12, v1
	v_add_co_ci_u32_e32 v2, vcc_lo, s13, v2, vcc_lo
	global_load_b64 v[1:2], v[1:2], off offset:8
	s_waitcnt vmcnt(0)
	v_sub_co_u32 v1, vcc_lo, v1, s9
	v_subrev_co_ci_u32_e32 v2, vcc_lo, 0, v2, vcc_lo
.LBB36_4:
	s_or_b32 exec_lo, exec_lo, s3
	v_cmp_lt_i64_e64 s2, s[6:7], 1
	v_and_b32_e32 v19, 63, v0
	s_delay_alu instid0(VALU_DEP_2) | instskip(NEXT) | instid1(VALU_DEP_1)
	s_and_b32 vcc_lo, exec_lo, s2
	v_cmp_eq_u32_e64 s2, 0, v19
	s_cbranch_vccnz .LBB36_22
; %bb.5:
	v_mbcnt_lo_u32_b32 v4, -1, 0
	s_load_b64 s[12:13], s[0:1], 0x38
	v_dual_mov_b32 v3, 0 :: v_dual_and_b32 v0, 7, v0
	v_bfrev_b32_e32 v27, 0.5
	s_delay_alu instid0(VALU_DEP_3)
	v_xor_b32_e32 v5, 4, v4
	v_xor_b32_e32 v6, 2, v4
	;; [unrolled: 1-line block ×3, first 2 shown]
	v_or_b32_e32 v8, 32, v4
	v_xor_b32_e32 v11, 16, v4
	v_cmp_gt_i32_e32 vcc_lo, 32, v5
	v_lshl_or_b32 v23, v4, 2, 28
	v_mov_b32_e32 v28, 1
	s_mov_b32 s18, 0
	s_ashr_i32 s14, s11, 31
	v_cndmask_b32_e32 v5, v4, v5, vcc_lo
	v_cmp_gt_i32_e32 vcc_lo, 32, v6
	s_sub_i32 s19, 0, s10
	v_cndmask_b32_e32 v6, v4, v6, vcc_lo
	v_cmp_gt_i32_e32 vcc_lo, 32, v7
	v_dual_cndmask_b32 v5, v4, v7 :: v_dual_lshlrev_b32 v20, 2, v5
	v_cmp_gt_i32_e32 vcc_lo, 32, v8
	s_delay_alu instid0(VALU_DEP_2) | instskip(SKIP_1) | instid1(VALU_DEP_2)
	v_dual_cndmask_b32 v7, v4, v8 :: v_dual_lshlrev_b32 v22, 2, v5
	v_cmp_gt_i32_e32 vcc_lo, 32, v11
	v_lshlrev_b32_e32 v24, 2, v7
	v_cndmask_b32_e32 v8, v4, v11, vcc_lo
	s_delay_alu instid0(VALU_DEP_1) | instskip(SKIP_4) | instid1(VALU_DEP_3)
	v_lshlrev_b32_e32 v25, 2, v8
	v_lshlrev_b32_e32 v21, 2, v6
	v_xor_b32_e32 v6, 8, v4
	v_mov_b32_e32 v7, 0
	v_mov_b32_e32 v8, 0
	v_cmp_gt_i32_e32 vcc_lo, 32, v6
	v_cndmask_b32_e32 v6, v4, v6, vcc_lo
	s_delay_alu instid0(VALU_DEP_1)
	v_lshlrev_b32_e32 v26, 2, v6
	s_branch .LBB36_7
.LBB36_6:                               ;   in Loop: Header=BB36_7 Depth=1
	s_or_b32 exec_lo, exec_lo, s3
	ds_bpermute_b32 v7, v24, v5
	ds_bpermute_b32 v8, v24, v6
	s_waitcnt lgkmcnt(0)
	buffer_gl0_inv
	v_cmp_lt_i64_e32 vcc_lo, v[7:8], v[5:6]
	v_dual_cndmask_b32 v6, v6, v8 :: v_dual_cndmask_b32 v5, v5, v7
	ds_bpermute_b32 v8, v25, v6
	ds_bpermute_b32 v7, v25, v5
	s_waitcnt lgkmcnt(0)
	v_cmp_lt_i64_e32 vcc_lo, v[7:8], v[5:6]
	v_dual_cndmask_b32 v6, v6, v8 :: v_dual_cndmask_b32 v5, v5, v7
	ds_bpermute_b32 v8, v26, v6
	ds_bpermute_b32 v7, v26, v5
	s_waitcnt lgkmcnt(0)
	;; [unrolled: 5-line block ×6, first 2 shown]
	v_cmp_le_i64_e32 vcc_lo, s[6:7], v[7:8]
	s_or_b32 s18, vcc_lo, s18
	s_delay_alu instid0(SALU_CYCLE_1)
	s_and_not1_b32 exec_lo, exec_lo, s18
	s_cbranch_execz .LBB36_21
.LBB36_7:                               ; =>This Loop Header: Depth=1
                                        ;     Child Loop BB36_10 Depth 2
	v_add_co_u32 v9, vcc_lo, v9, v0
	v_add_co_ci_u32_e32 v10, vcc_lo, 0, v10, vcc_lo
	v_dual_mov_b32 v5, s6 :: v_dual_mov_b32 v6, s7
	v_dual_mov_b32 v16, v2 :: v_dual_mov_b32 v15, v1
	s_mov_b32 s20, exec_lo
	ds_store_b8 v17, v3 offset:32
	s_waitcnt lgkmcnt(0)
	buffer_gl0_inv
	v_cmpx_lt_i64_e64 v[9:10], v[1:2]
	s_cbranch_execz .LBB36_19
; %bb.8:                                ;   in Loop: Header=BB36_7 Depth=1
	v_lshlrev_b64 v[11:12], 3, v[9:10]
	v_dual_mov_b32 v5, s6 :: v_dual_mov_b32 v6, s7
	v_dual_mov_b32 v14, v2 :: v_dual_mov_b32 v13, v1
	s_mov_b32 s21, 0
	s_delay_alu instid0(VALU_DEP_3) | instskip(NEXT) | instid1(VALU_DEP_4)
	v_add_co_u32 v11, vcc_lo, s12, v11
	v_add_co_ci_u32_e32 v12, vcc_lo, s13, v12, vcc_lo
	s_branch .LBB36_10
.LBB36_9:                               ;   in Loop: Header=BB36_10 Depth=2
	s_or_b32 exec_lo, exec_lo, s3
	v_add_co_u32 v9, s3, v9, 8
	s_delay_alu instid0(VALU_DEP_1) | instskip(SKIP_2) | instid1(VALU_DEP_2)
	v_add_co_ci_u32_e64 v10, s3, 0, v10, s3
	s_xor_b32 s15, vcc_lo, -1
	v_add_co_u32 v11, vcc_lo, v11, 64
	v_cmp_ge_i64_e64 s3, v[9:10], v[1:2]
	v_add_co_ci_u32_e32 v12, vcc_lo, 0, v12, vcc_lo
	v_dual_mov_b32 v13, v15 :: v_dual_mov_b32 v14, v16
	s_delay_alu instid0(VALU_DEP_3) | instskip(NEXT) | instid1(SALU_CYCLE_1)
	s_or_b32 s3, s15, s3
	s_and_b32 s3, exec_lo, s3
	s_delay_alu instid0(SALU_CYCLE_1) | instskip(NEXT) | instid1(SALU_CYCLE_1)
	s_or_b32 s21, s3, s21
	s_and_not1_b32 exec_lo, exec_lo, s21
	s_cbranch_execz .LBB36_18
.LBB36_10:                              ;   Parent Loop BB36_7 Depth=1
                                        ; =>  This Inner Loop Header: Depth=2
	global_load_b64 v[15:16], v[11:12], off
	s_mov_b32 s3, exec_lo
	s_waitcnt vmcnt(0)
	v_sub_co_u32 v29, vcc_lo, v15, s9
	v_subrev_co_ci_u32_e32 v30, vcc_lo, 0, v16, vcc_lo
                                        ; implicit-def: $vgpr15_vgpr16
	s_delay_alu instid0(VALU_DEP_1) | instskip(NEXT) | instid1(VALU_DEP_1)
	v_or_b32_e32 v4, s11, v30
	v_cmpx_ne_u64_e32 0, v[3:4]
	s_xor_b32 s22, exec_lo, s3
	s_cbranch_execz .LBB36_12
; %bb.11:                               ;   in Loop: Header=BB36_10 Depth=2
	s_add_u32 s16, s10, s14
	s_mov_b32 s15, s14
	s_addc_u32 s17, s11, s14
	s_delay_alu instid0(SALU_CYCLE_1) | instskip(NEXT) | instid1(SALU_CYCLE_1)
	s_xor_b64 s[16:17], s[16:17], s[14:15]
	v_cvt_f32_u32_e32 v4, s16
	v_cvt_f32_u32_e32 v15, s17
	s_sub_u32 s3, 0, s16
	s_subb_u32 s15, 0, s17
	s_delay_alu instid0(VALU_DEP_1) | instskip(NEXT) | instid1(VALU_DEP_1)
	v_fmac_f32_e32 v4, 0x4f800000, v15
	v_rcp_f32_e32 v4, v4
	s_waitcnt_depctr 0xfff
	v_mul_f32_e32 v4, 0x5f7ffffc, v4
	s_delay_alu instid0(VALU_DEP_1) | instskip(NEXT) | instid1(VALU_DEP_1)
	v_mul_f32_e32 v15, 0x2f800000, v4
	v_trunc_f32_e32 v15, v15
	s_delay_alu instid0(VALU_DEP_1) | instskip(SKIP_1) | instid1(VALU_DEP_2)
	v_fmac_f32_e32 v4, 0xcf800000, v15
	v_cvt_u32_f32_e32 v15, v15
	v_cvt_u32_f32_e32 v4, v4
	s_delay_alu instid0(VALU_DEP_2) | instskip(NEXT) | instid1(VALU_DEP_2)
	v_mul_lo_u32 v16, s3, v15
	v_mul_hi_u32 v31, s3, v4
	v_mul_lo_u32 v32, s15, v4
	s_delay_alu instid0(VALU_DEP_2) | instskip(SKIP_1) | instid1(VALU_DEP_2)
	v_add_nc_u32_e32 v16, v31, v16
	v_mul_lo_u32 v31, s3, v4
	v_add_nc_u32_e32 v16, v16, v32
	s_delay_alu instid0(VALU_DEP_2) | instskip(NEXT) | instid1(VALU_DEP_2)
	v_mul_hi_u32 v32, v4, v31
	v_mul_lo_u32 v33, v4, v16
	v_mul_hi_u32 v34, v4, v16
	v_mul_hi_u32 v35, v15, v31
	v_mul_lo_u32 v31, v15, v31
	v_mul_hi_u32 v36, v15, v16
	v_mul_lo_u32 v16, v15, v16
	v_add_co_u32 v32, vcc_lo, v32, v33
	v_add_co_ci_u32_e32 v33, vcc_lo, 0, v34, vcc_lo
	s_delay_alu instid0(VALU_DEP_2) | instskip(NEXT) | instid1(VALU_DEP_2)
	v_add_co_u32 v31, vcc_lo, v32, v31
	v_add_co_ci_u32_e32 v31, vcc_lo, v33, v35, vcc_lo
	v_add_co_ci_u32_e32 v32, vcc_lo, 0, v36, vcc_lo
	v_ashrrev_i32_e32 v35, 31, v30
	s_delay_alu instid0(VALU_DEP_3) | instskip(NEXT) | instid1(VALU_DEP_3)
	v_add_co_u32 v16, vcc_lo, v31, v16
	v_add_co_ci_u32_e32 v31, vcc_lo, 0, v32, vcc_lo
	s_delay_alu instid0(VALU_DEP_2) | instskip(NEXT) | instid1(VALU_DEP_2)
	v_add_co_u32 v4, vcc_lo, v4, v16
	v_add_co_ci_u32_e32 v15, vcc_lo, v15, v31, vcc_lo
	s_delay_alu instid0(VALU_DEP_2) | instskip(SKIP_1) | instid1(VALU_DEP_3)
	v_mul_hi_u32 v16, s3, v4
	v_mul_lo_u32 v32, s15, v4
	v_mul_lo_u32 v31, s3, v15
	s_delay_alu instid0(VALU_DEP_1) | instskip(SKIP_1) | instid1(VALU_DEP_2)
	v_add_nc_u32_e32 v16, v16, v31
	v_mul_lo_u32 v31, s3, v4
	v_add_nc_u32_e32 v16, v16, v32
	s_delay_alu instid0(VALU_DEP_2) | instskip(NEXT) | instid1(VALU_DEP_2)
	v_mul_hi_u32 v32, v4, v31
	v_mul_lo_u32 v33, v4, v16
	v_mul_hi_u32 v34, v4, v16
	v_mul_hi_u32 v36, v15, v31
	v_mul_lo_u32 v31, v15, v31
	v_mul_hi_u32 v37, v15, v16
	v_mul_lo_u32 v16, v15, v16
	v_add_co_u32 v32, vcc_lo, v32, v33
	v_add_co_ci_u32_e32 v33, vcc_lo, 0, v34, vcc_lo
	s_delay_alu instid0(VALU_DEP_2) | instskip(NEXT) | instid1(VALU_DEP_2)
	v_add_co_u32 v31, vcc_lo, v32, v31
	v_add_co_ci_u32_e32 v31, vcc_lo, v33, v36, vcc_lo
	v_add_co_ci_u32_e32 v32, vcc_lo, 0, v37, vcc_lo
	v_add_co_u32 v29, vcc_lo, v29, v35
	v_add_co_ci_u32_e32 v30, vcc_lo, v30, v35, vcc_lo
	s_delay_alu instid0(VALU_DEP_4) | instskip(NEXT) | instid1(VALU_DEP_4)
	v_add_co_u32 v16, vcc_lo, v31, v16
	v_add_co_ci_u32_e32 v31, vcc_lo, 0, v32, vcc_lo
	s_delay_alu instid0(VALU_DEP_4) | instskip(NEXT) | instid1(VALU_DEP_3)
	v_xor_b32_e32 v33, v29, v35
	v_add_co_u32 v4, vcc_lo, v4, v16
	s_delay_alu instid0(VALU_DEP_3) | instskip(SKIP_1) | instid1(VALU_DEP_3)
	v_add_co_ci_u32_e32 v34, vcc_lo, v15, v31, vcc_lo
	v_xor_b32_e32 v36, v30, v35
	v_mul_hi_u32 v37, v33, v4
	s_delay_alu instid0(VALU_DEP_3) | instskip(NEXT) | instid1(VALU_DEP_3)
	v_mad_u64_u32 v[15:16], null, v33, v34, 0
	v_mad_u64_u32 v[29:30], null, v36, v4, 0
	;; [unrolled: 1-line block ×3, first 2 shown]
	s_delay_alu instid0(VALU_DEP_3) | instskip(NEXT) | instid1(VALU_DEP_4)
	v_add_co_u32 v4, vcc_lo, v37, v15
	v_add_co_ci_u32_e32 v15, vcc_lo, 0, v16, vcc_lo
	s_delay_alu instid0(VALU_DEP_2) | instskip(NEXT) | instid1(VALU_DEP_2)
	v_add_co_u32 v4, vcc_lo, v4, v29
	v_add_co_ci_u32_e32 v4, vcc_lo, v15, v30, vcc_lo
	v_add_co_ci_u32_e32 v15, vcc_lo, 0, v32, vcc_lo
	s_delay_alu instid0(VALU_DEP_2) | instskip(NEXT) | instid1(VALU_DEP_2)
	v_add_co_u32 v4, vcc_lo, v4, v31
	v_add_co_ci_u32_e32 v29, vcc_lo, 0, v15, vcc_lo
	s_delay_alu instid0(VALU_DEP_2) | instskip(SKIP_1) | instid1(VALU_DEP_3)
	v_mul_lo_u32 v30, s17, v4
	v_mad_u64_u32 v[15:16], null, s16, v4, 0
	v_mul_lo_u32 v31, s16, v29
	s_delay_alu instid0(VALU_DEP_2) | instskip(NEXT) | instid1(VALU_DEP_2)
	v_sub_co_u32 v15, vcc_lo, v33, v15
	v_add3_u32 v16, v16, v31, v30
	s_delay_alu instid0(VALU_DEP_1) | instskip(NEXT) | instid1(VALU_DEP_1)
	v_sub_nc_u32_e32 v30, v36, v16
	v_subrev_co_ci_u32_e64 v30, s3, s17, v30, vcc_lo
	v_add_co_u32 v31, s3, v4, 2
	s_delay_alu instid0(VALU_DEP_1) | instskip(SKIP_3) | instid1(VALU_DEP_3)
	v_add_co_ci_u32_e64 v32, s3, 0, v29, s3
	v_sub_co_u32 v33, s3, v15, s16
	v_sub_co_ci_u32_e32 v16, vcc_lo, v36, v16, vcc_lo
	v_subrev_co_ci_u32_e64 v30, s3, 0, v30, s3
	v_cmp_le_u32_e32 vcc_lo, s16, v33
	s_delay_alu instid0(VALU_DEP_3) | instskip(SKIP_1) | instid1(VALU_DEP_4)
	v_cmp_eq_u32_e64 s3, s17, v16
	v_cndmask_b32_e64 v33, 0, -1, vcc_lo
	v_cmp_le_u32_e32 vcc_lo, s17, v30
	v_cndmask_b32_e64 v34, 0, -1, vcc_lo
	v_cmp_le_u32_e32 vcc_lo, s16, v15
	;; [unrolled: 2-line block ×3, first 2 shown]
	v_cndmask_b32_e64 v36, 0, -1, vcc_lo
	v_cmp_eq_u32_e32 vcc_lo, s17, v30
	s_delay_alu instid0(VALU_DEP_2) | instskip(SKIP_3) | instid1(VALU_DEP_3)
	v_cndmask_b32_e64 v15, v36, v15, s3
	v_cndmask_b32_e32 v30, v34, v33, vcc_lo
	v_add_co_u32 v33, vcc_lo, v4, 1
	v_add_co_ci_u32_e32 v34, vcc_lo, 0, v29, vcc_lo
	v_cmp_ne_u32_e32 vcc_lo, 0, v30
	s_delay_alu instid0(VALU_DEP_2) | instskip(NEXT) | instid1(VALU_DEP_4)
	v_cndmask_b32_e32 v16, v34, v32, vcc_lo
	v_cndmask_b32_e32 v30, v33, v31, vcc_lo
	v_cmp_ne_u32_e32 vcc_lo, 0, v15
	v_xor_b32_e32 v31, s14, v35
	s_delay_alu instid0(VALU_DEP_3) | instskip(NEXT) | instid1(VALU_DEP_1)
	v_dual_cndmask_b32 v4, v4, v30 :: v_dual_cndmask_b32 v15, v29, v16
                                        ; implicit-def: $vgpr29
	v_xor_b32_e32 v4, v4, v31
	s_delay_alu instid0(VALU_DEP_2) | instskip(NEXT) | instid1(VALU_DEP_2)
	v_xor_b32_e32 v16, v15, v31
	v_sub_co_u32 v15, vcc_lo, v4, v31
	s_delay_alu instid0(VALU_DEP_2)
	v_sub_co_ci_u32_e32 v16, vcc_lo, v16, v31, vcc_lo
.LBB36_12:                              ;   in Loop: Header=BB36_10 Depth=2
	s_and_not1_saveexec_b32 s3, s22
	s_cbranch_execz .LBB36_14
; %bb.13:                               ;   in Loop: Header=BB36_10 Depth=2
	v_cvt_f32_u32_e32 v4, s10
	s_delay_alu instid0(VALU_DEP_1) | instskip(SKIP_2) | instid1(VALU_DEP_1)
	v_rcp_iflag_f32_e32 v4, v4
	s_waitcnt_depctr 0xfff
	v_mul_f32_e32 v4, 0x4f7ffffe, v4
	v_cvt_u32_f32_e32 v4, v4
	s_delay_alu instid0(VALU_DEP_1) | instskip(NEXT) | instid1(VALU_DEP_1)
	v_mul_lo_u32 v15, s19, v4
	v_mul_hi_u32 v15, v4, v15
	s_delay_alu instid0(VALU_DEP_1) | instskip(NEXT) | instid1(VALU_DEP_1)
	v_add_nc_u32_e32 v4, v4, v15
	v_mul_hi_u32 v4, v29, v4
	s_delay_alu instid0(VALU_DEP_1) | instskip(SKIP_1) | instid1(VALU_DEP_2)
	v_mul_lo_u32 v15, v4, s10
	v_add_nc_u32_e32 v16, 1, v4
	v_sub_nc_u32_e32 v15, v29, v15
	s_delay_alu instid0(VALU_DEP_1) | instskip(SKIP_1) | instid1(VALU_DEP_2)
	v_subrev_nc_u32_e32 v29, s10, v15
	v_cmp_le_u32_e32 vcc_lo, s10, v15
	v_dual_cndmask_b32 v15, v15, v29 :: v_dual_cndmask_b32 v4, v4, v16
	s_delay_alu instid0(VALU_DEP_1) | instskip(NEXT) | instid1(VALU_DEP_2)
	v_cmp_le_u32_e32 vcc_lo, s10, v15
	v_add_nc_u32_e32 v16, 1, v4
	s_delay_alu instid0(VALU_DEP_1)
	v_dual_cndmask_b32 v15, v4, v16 :: v_dual_mov_b32 v16, v3
.LBB36_14:                              ;   in Loop: Header=BB36_10 Depth=2
	s_or_b32 exec_lo, exec_lo, s3
	s_delay_alu instid0(VALU_DEP_1)
	v_cmp_eq_u64_e32 vcc_lo, v[15:16], v[7:8]
	s_mov_b32 s15, exec_lo
	v_cmpx_ne_u64_e64 v[15:16], v[7:8]
	s_xor_b32 s15, exec_lo, s15
; %bb.15:                               ;   in Loop: Header=BB36_10 Depth=2
	v_cmp_lt_i64_e64 s3, v[15:16], v[5:6]
                                        ; implicit-def: $vgpr13_vgpr14
	s_delay_alu instid0(VALU_DEP_1)
	v_cndmask_b32_e64 v6, v6, v16, s3
	v_cndmask_b32_e64 v5, v5, v15, s3
; %bb.16:                               ;   in Loop: Header=BB36_10 Depth=2
	s_or_saveexec_b32 s3, s15
	v_dual_mov_b32 v16, v10 :: v_dual_mov_b32 v15, v9
	s_xor_b32 exec_lo, exec_lo, s3
	s_cbranch_execz .LBB36_9
; %bb.17:                               ;   in Loop: Header=BB36_10 Depth=2
	v_dual_mov_b32 v16, v14 :: v_dual_mov_b32 v15, v13
	ds_store_b8 v17, v28 offset:32
	s_branch .LBB36_9
.LBB36_18:                              ;   in Loop: Header=BB36_7 Depth=1
	s_or_b32 exec_lo, exec_lo, s21
.LBB36_19:                              ;   in Loop: Header=BB36_7 Depth=1
	s_delay_alu instid0(SALU_CYCLE_1)
	s_or_b32 exec_lo, exec_lo, s20
	ds_bpermute_b32 v7, v20, v15
	ds_bpermute_b32 v8, v20, v16
	s_waitcnt lgkmcnt(0)
	buffer_gl0_inv
	ds_load_u8 v4, v17 offset:32
	v_cmp_lt_i64_e32 vcc_lo, v[7:8], v[15:16]
	s_waitcnt lgkmcnt(0)
	v_and_b32_e32 v4, 1, v4
	v_dual_cndmask_b32 v8, v16, v8 :: v_dual_cndmask_b32 v7, v15, v7
	ds_bpermute_b32 v10, v21, v8
	ds_bpermute_b32 v9, v21, v7
	s_waitcnt lgkmcnt(0)
	v_cmp_lt_i64_e32 vcc_lo, v[9:10], v[7:8]
	v_dual_cndmask_b32 v8, v8, v10 :: v_dual_cndmask_b32 v7, v7, v9
	ds_bpermute_b32 v10, v22, v8
	ds_bpermute_b32 v9, v22, v7
	s_waitcnt lgkmcnt(0)
	v_cmp_lt_i64_e32 vcc_lo, v[9:10], v[7:8]
	v_dual_cndmask_b32 v8, v8, v10 :: v_dual_cndmask_b32 v7, v7, v9
	v_cmp_eq_u32_e32 vcc_lo, 1, v4
	ds_bpermute_b32 v10, v23, v8
	ds_bpermute_b32 v9, v23, v7
	s_and_b32 s15, s2, vcc_lo
	s_delay_alu instid0(SALU_CYCLE_1)
	s_and_saveexec_b32 s3, s15
	s_cbranch_execz .LBB36_6
; %bb.20:                               ;   in Loop: Header=BB36_7 Depth=1
	ds_load_b64 v[7:8], v18
	s_waitcnt lgkmcnt(0)
	v_add_co_u32 v7, vcc_lo, v7, 1
	v_add_co_ci_u32_e32 v8, vcc_lo, 0, v8, vcc_lo
	ds_store_b64 v18, v[7:8]
	s_branch .LBB36_6
.LBB36_21:
	s_or_b32 exec_lo, exec_lo, s18
.LBB36_22:
	s_delay_alu instid0(SALU_CYCLE_1)
	s_mov_b32 s2, exec_lo
	v_cmpx_eq_u32_e32 0, v19
	s_cbranch_execz .LBB36_25
; %bb.23:
	s_clause 0x1
	s_load_b32 s2, s[0:1], 0x40
	s_load_b64 s[0:1], s[0:1], 0x48
	s_waitcnt lgkmcnt(0)
	v_dual_mov_b32 v1, 0 :: v_dual_mov_b32 v0, s2
	global_store_b64 v1, v[0:1], s[0:1]
	v_lshl_or_b32 v0, s8, 2, v17
	s_delay_alu instid0(VALU_DEP_1)
	v_cmp_gt_i64_e32 vcc_lo, s[4:5], v[0:1]
	s_and_b32 exec_lo, exec_lo, vcc_lo
	s_cbranch_execz .LBB36_25
; %bb.24:
	ds_load_b64 v[2:3], v18
	v_add_nc_u32_e32 v0, 1, v0
	s_delay_alu instid0(VALU_DEP_1) | instskip(NEXT) | instid1(VALU_DEP_1)
	v_lshlrev_b64 v[0:1], 3, v[0:1]
	v_add_co_u32 v0, vcc_lo, s0, v0
	s_delay_alu instid0(VALU_DEP_2)
	v_add_co_ci_u32_e32 v1, vcc_lo, s1, v1, vcc_lo
	s_waitcnt lgkmcnt(0)
	global_store_b64 v[0:1], v[2:3], off
.LBB36_25:
	s_nop 0
	s_sendmsg sendmsg(MSG_DEALLOC_VGPRS)
	s_endpgm
	.section	.rodata,"a",@progbits
	.p2align	6, 0x0
	.amdhsa_kernel _ZN9rocsparseL46csr2bsr_nnz_wavefront_per_row_multipass_kernelILj256ELj64ELj8EllEEvT3_S1_S1_S1_S1_21rocsparse_index_base_PKT2_PKS1_S2_PS3_
		.amdhsa_group_segment_fixed_size 40
		.amdhsa_private_segment_fixed_size 0
		.amdhsa_kernarg_size 80
		.amdhsa_user_sgpr_count 15
		.amdhsa_user_sgpr_dispatch_ptr 0
		.amdhsa_user_sgpr_queue_ptr 0
		.amdhsa_user_sgpr_kernarg_segment_ptr 1
		.amdhsa_user_sgpr_dispatch_id 0
		.amdhsa_user_sgpr_private_segment_size 0
		.amdhsa_wavefront_size32 1
		.amdhsa_uses_dynamic_stack 0
		.amdhsa_enable_private_segment 0
		.amdhsa_system_sgpr_workgroup_id_x 1
		.amdhsa_system_sgpr_workgroup_id_y 0
		.amdhsa_system_sgpr_workgroup_id_z 0
		.amdhsa_system_sgpr_workgroup_info 0
		.amdhsa_system_vgpr_workitem_id 0
		.amdhsa_next_free_vgpr 38
		.amdhsa_next_free_sgpr 23
		.amdhsa_reserve_vcc 1
		.amdhsa_float_round_mode_32 0
		.amdhsa_float_round_mode_16_64 0
		.amdhsa_float_denorm_mode_32 3
		.amdhsa_float_denorm_mode_16_64 3
		.amdhsa_dx10_clamp 1
		.amdhsa_ieee_mode 1
		.amdhsa_fp16_overflow 0
		.amdhsa_workgroup_processor_mode 1
		.amdhsa_memory_ordered 1
		.amdhsa_forward_progress 0
		.amdhsa_shared_vgpr_count 0
		.amdhsa_exception_fp_ieee_invalid_op 0
		.amdhsa_exception_fp_denorm_src 0
		.amdhsa_exception_fp_ieee_div_zero 0
		.amdhsa_exception_fp_ieee_overflow 0
		.amdhsa_exception_fp_ieee_underflow 0
		.amdhsa_exception_fp_ieee_inexact 0
		.amdhsa_exception_int_div_zero 0
	.end_amdhsa_kernel
	.section	.text._ZN9rocsparseL46csr2bsr_nnz_wavefront_per_row_multipass_kernelILj256ELj64ELj8EllEEvT3_S1_S1_S1_S1_21rocsparse_index_base_PKT2_PKS1_S2_PS3_,"axG",@progbits,_ZN9rocsparseL46csr2bsr_nnz_wavefront_per_row_multipass_kernelILj256ELj64ELj8EllEEvT3_S1_S1_S1_S1_21rocsparse_index_base_PKT2_PKS1_S2_PS3_,comdat
.Lfunc_end36:
	.size	_ZN9rocsparseL46csr2bsr_nnz_wavefront_per_row_multipass_kernelILj256ELj64ELj8EllEEvT3_S1_S1_S1_S1_21rocsparse_index_base_PKT2_PKS1_S2_PS3_, .Lfunc_end36-_ZN9rocsparseL46csr2bsr_nnz_wavefront_per_row_multipass_kernelILj256ELj64ELj8EllEEvT3_S1_S1_S1_S1_21rocsparse_index_base_PKT2_PKS1_S2_PS3_
                                        ; -- End function
	.section	.AMDGPU.csdata,"",@progbits
; Kernel info:
; codeLenInByte = 2404
; NumSgprs: 25
; NumVgprs: 38
; ScratchSize: 0
; MemoryBound: 0
; FloatMode: 240
; IeeeMode: 1
; LDSByteSize: 40 bytes/workgroup (compile time only)
; SGPRBlocks: 3
; VGPRBlocks: 4
; NumSGPRsForWavesPerEU: 25
; NumVGPRsForWavesPerEU: 38
; Occupancy: 16
; WaveLimiterHint : 0
; COMPUTE_PGM_RSRC2:SCRATCH_EN: 0
; COMPUTE_PGM_RSRC2:USER_SGPR: 15
; COMPUTE_PGM_RSRC2:TRAP_HANDLER: 0
; COMPUTE_PGM_RSRC2:TGID_X_EN: 1
; COMPUTE_PGM_RSRC2:TGID_Y_EN: 0
; COMPUTE_PGM_RSRC2:TGID_Z_EN: 0
; COMPUTE_PGM_RSRC2:TIDIG_COMP_CNT: 0
	.section	.text._ZN9rocsparseL46csr2bsr_nnz_wavefront_per_row_multipass_kernelILj256ELj32ELj8EllEEvT3_S1_S1_S1_S1_21rocsparse_index_base_PKT2_PKS1_S2_PS3_,"axG",@progbits,_ZN9rocsparseL46csr2bsr_nnz_wavefront_per_row_multipass_kernelILj256ELj32ELj8EllEEvT3_S1_S1_S1_S1_21rocsparse_index_base_PKT2_PKS1_S2_PS3_,comdat
	.globl	_ZN9rocsparseL46csr2bsr_nnz_wavefront_per_row_multipass_kernelILj256ELj32ELj8EllEEvT3_S1_S1_S1_S1_21rocsparse_index_base_PKT2_PKS1_S2_PS3_ ; -- Begin function _ZN9rocsparseL46csr2bsr_nnz_wavefront_per_row_multipass_kernelILj256ELj32ELj8EllEEvT3_S1_S1_S1_S1_21rocsparse_index_base_PKT2_PKS1_S2_PS3_
	.p2align	8
	.type	_ZN9rocsparseL46csr2bsr_nnz_wavefront_per_row_multipass_kernelILj256ELj32ELj8EllEEvT3_S1_S1_S1_S1_21rocsparse_index_base_PKT2_PKS1_S2_PS3_,@function
_ZN9rocsparseL46csr2bsr_nnz_wavefront_per_row_multipass_kernelILj256ELj32ELj8EllEEvT3_S1_S1_S1_S1_21rocsparse_index_base_PKT2_PKS1_S2_PS3_: ; @_ZN9rocsparseL46csr2bsr_nnz_wavefront_per_row_multipass_kernelILj256ELj32ELj8EllEEvT3_S1_S1_S1_S1_21rocsparse_index_base_PKT2_PKS1_S2_PS3_
; %bb.0:
	s_load_b64 s[10:11], s[0:1], 0x20
	v_lshrrev_b32_e32 v17, 5, v0
	s_mov_b32 s8, s15
	s_ashr_i32 s9, s15, 31
	s_clause 0x1
	s_load_b64 s[14:15], s[0:1], 0x0
	s_load_b128 s[4:7], s[0:1], 0x10
	s_lshl_b64 s[2:3], s[8:9], 3
	v_mov_b32_e32 v6, 0
	v_or_b32_e32 v1, s2, v17
	v_bfe_u32 v5, v0, 2, 3
	s_clause 0x1
	s_load_b32 s9, s[0:1], 0x28
	s_load_b64 s[12:13], s[0:1], 0x30
	v_lshlrev_b32_e32 v18, 3, v17
	s_waitcnt lgkmcnt(0)
	v_mul_lo_u32 v7, v1, s11
	v_mad_u64_u32 v[3:4], null, v1, s10, v[5:6]
	v_mov_b32_e32 v1, 0
	s_mul_i32 s2, s3, s10
	v_mov_b32_e32 v2, 0
	s_delay_alu instid0(VALU_DEP_3) | instskip(SKIP_2) | instid1(VALU_DEP_4)
	v_add3_u32 v4, s2, v4, v7
	v_mov_b32_e32 v7, v6
	v_cmp_gt_i64_e64 s2, s[10:11], v[5:6]
	v_mov_b32_e32 v10, v2
	v_dual_mov_b32 v8, v6 :: v_dual_mov_b32 v9, v1
	v_cmp_gt_i64_e32 vcc_lo, s[14:15], v[3:4]
	ds_store_b64 v18, v[7:8]
	s_waitcnt lgkmcnt(0)
	s_barrier
	s_and_b32 s2, s2, vcc_lo
	buffer_gl0_inv
	s_and_saveexec_b32 s3, s2
	s_cbranch_execz .LBB37_2
; %bb.1:
	v_lshlrev_b64 v[5:6], 3, v[3:4]
	s_delay_alu instid0(VALU_DEP_1) | instskip(NEXT) | instid1(VALU_DEP_2)
	v_add_co_u32 v5, vcc_lo, s12, v5
	v_add_co_ci_u32_e32 v6, vcc_lo, s13, v6, vcc_lo
	global_load_b64 v[5:6], v[5:6], off
	s_waitcnt vmcnt(0)
	v_sub_co_u32 v9, vcc_lo, v5, s9
	v_subrev_co_ci_u32_e32 v10, vcc_lo, 0, v6, vcc_lo
.LBB37_2:
	s_or_b32 exec_lo, exec_lo, s3
	s_and_saveexec_b32 s3, s2
	s_cbranch_execz .LBB37_4
; %bb.3:
	v_lshlrev_b64 v[1:2], 3, v[3:4]
	s_delay_alu instid0(VALU_DEP_1) | instskip(NEXT) | instid1(VALU_DEP_2)
	v_add_co_u32 v1, vcc_lo, s12, v1
	v_add_co_ci_u32_e32 v2, vcc_lo, s13, v2, vcc_lo
	global_load_b64 v[1:2], v[1:2], off offset:8
	s_waitcnt vmcnt(0)
	v_sub_co_u32 v1, vcc_lo, v1, s9
	v_subrev_co_ci_u32_e32 v2, vcc_lo, 0, v2, vcc_lo
.LBB37_4:
	s_or_b32 exec_lo, exec_lo, s3
	v_cmp_lt_i64_e64 s2, s[6:7], 1
	v_and_b32_e32 v19, 31, v0
	s_delay_alu instid0(VALU_DEP_2) | instskip(NEXT) | instid1(VALU_DEP_1)
	s_and_b32 vcc_lo, exec_lo, s2
	v_cmp_eq_u32_e64 s2, 0, v19
	s_cbranch_vccnz .LBB37_22
; %bb.5:
	v_mbcnt_lo_u32_b32 v4, -1, 0
	s_load_b64 s[12:13], s[0:1], 0x38
	v_dual_mov_b32 v3, 0 :: v_dual_and_b32 v0, 3, v0
	s_mov_b32 s18, 0
	s_delay_alu instid0(VALU_DEP_2)
	v_xor_b32_e32 v5, 2, v4
	v_xor_b32_e32 v6, 1, v4
	;; [unrolled: 1-line block ×5, first 2 shown]
	v_cmp_gt_i32_e32 vcc_lo, 32, v5
	v_lshl_or_b32 v22, v4, 2, 12
	s_ashr_i32 s14, s11, 31
	s_sub_i32 s19, 0, s10
	v_dual_mov_b32 v26, 0x7c :: v_dual_cndmask_b32 v5, v4, v5
	v_cmp_gt_i32_e32 vcc_lo, 32, v6
	s_delay_alu instid0(VALU_DEP_2) | instskip(SKIP_4) | instid1(VALU_DEP_2)
	v_dual_mov_b32 v27, 1 :: v_dual_lshlrev_b32 v20, 2, v5
	v_cndmask_b32_e32 v6, v4, v6, vcc_lo
	v_cmp_gt_i32_e32 vcc_lo, 32, v7
	v_cndmask_b32_e32 v7, v4, v7, vcc_lo
	v_cmp_gt_i32_e32 vcc_lo, 32, v8
	v_lshlrev_b32_e32 v23, 2, v7
	v_cndmask_b32_e32 v5, v4, v8, vcc_lo
	v_cmp_gt_i32_e32 vcc_lo, 32, v11
	v_dual_cndmask_b32 v8, v4, v11 :: v_dual_lshlrev_b32 v21, 2, v6
	s_delay_alu instid0(VALU_DEP_1)
	v_lshlrev_b32_e32 v25, 2, v8
	v_mov_b32_e32 v7, 0
	v_mov_b32_e32 v8, 0
	v_lshlrev_b32_e32 v24, 2, v5
	s_branch .LBB37_7
.LBB37_6:                               ;   in Loop: Header=BB37_7 Depth=1
	s_or_b32 exec_lo, exec_lo, s3
	ds_bpermute_b32 v7, v23, v5
	ds_bpermute_b32 v8, v23, v6
	s_waitcnt lgkmcnt(0)
	buffer_gl0_inv
	v_cmp_lt_i64_e32 vcc_lo, v[7:8], v[5:6]
	v_dual_cndmask_b32 v6, v6, v8 :: v_dual_cndmask_b32 v5, v5, v7
	ds_bpermute_b32 v8, v24, v6
	ds_bpermute_b32 v7, v24, v5
	s_waitcnt lgkmcnt(0)
	v_cmp_lt_i64_e32 vcc_lo, v[7:8], v[5:6]
	v_dual_cndmask_b32 v6, v6, v8 :: v_dual_cndmask_b32 v5, v5, v7
	ds_bpermute_b32 v8, v25, v6
	ds_bpermute_b32 v7, v25, v5
	s_waitcnt lgkmcnt(0)
	;; [unrolled: 5-line block ×5, first 2 shown]
	v_cmp_le_i64_e32 vcc_lo, s[6:7], v[7:8]
	s_or_b32 s18, vcc_lo, s18
	s_delay_alu instid0(SALU_CYCLE_1)
	s_and_not1_b32 exec_lo, exec_lo, s18
	s_cbranch_execz .LBB37_21
.LBB37_7:                               ; =>This Loop Header: Depth=1
                                        ;     Child Loop BB37_10 Depth 2
	v_add_co_u32 v9, vcc_lo, v9, v0
	v_add_co_ci_u32_e32 v10, vcc_lo, 0, v10, vcc_lo
	v_dual_mov_b32 v5, s6 :: v_dual_mov_b32 v6, s7
	v_dual_mov_b32 v16, v2 :: v_dual_mov_b32 v15, v1
	s_mov_b32 s20, exec_lo
	ds_store_b8 v17, v3 offset:64
	s_waitcnt lgkmcnt(0)
	buffer_gl0_inv
	v_cmpx_lt_i64_e64 v[9:10], v[1:2]
	s_cbranch_execz .LBB37_19
; %bb.8:                                ;   in Loop: Header=BB37_7 Depth=1
	v_lshlrev_b64 v[11:12], 3, v[9:10]
	v_dual_mov_b32 v5, s6 :: v_dual_mov_b32 v6, s7
	v_dual_mov_b32 v14, v2 :: v_dual_mov_b32 v13, v1
	s_mov_b32 s21, 0
	s_delay_alu instid0(VALU_DEP_3) | instskip(NEXT) | instid1(VALU_DEP_4)
	v_add_co_u32 v11, vcc_lo, s12, v11
	v_add_co_ci_u32_e32 v12, vcc_lo, s13, v12, vcc_lo
	s_branch .LBB37_10
.LBB37_9:                               ;   in Loop: Header=BB37_10 Depth=2
	s_or_b32 exec_lo, exec_lo, s3
	v_add_co_u32 v9, s3, v9, 4
	s_delay_alu instid0(VALU_DEP_1) | instskip(SKIP_2) | instid1(VALU_DEP_2)
	v_add_co_ci_u32_e64 v10, s3, 0, v10, s3
	s_xor_b32 s15, vcc_lo, -1
	v_add_co_u32 v11, vcc_lo, v11, 32
	v_cmp_ge_i64_e64 s3, v[9:10], v[1:2]
	v_add_co_ci_u32_e32 v12, vcc_lo, 0, v12, vcc_lo
	v_dual_mov_b32 v13, v15 :: v_dual_mov_b32 v14, v16
	s_delay_alu instid0(VALU_DEP_3) | instskip(NEXT) | instid1(SALU_CYCLE_1)
	s_or_b32 s3, s15, s3
	s_and_b32 s3, exec_lo, s3
	s_delay_alu instid0(SALU_CYCLE_1) | instskip(NEXT) | instid1(SALU_CYCLE_1)
	s_or_b32 s21, s3, s21
	s_and_not1_b32 exec_lo, exec_lo, s21
	s_cbranch_execz .LBB37_18
.LBB37_10:                              ;   Parent Loop BB37_7 Depth=1
                                        ; =>  This Inner Loop Header: Depth=2
	global_load_b64 v[15:16], v[11:12], off
	s_mov_b32 s3, exec_lo
	s_waitcnt vmcnt(0)
	v_sub_co_u32 v28, vcc_lo, v15, s9
	v_subrev_co_ci_u32_e32 v29, vcc_lo, 0, v16, vcc_lo
                                        ; implicit-def: $vgpr15_vgpr16
	s_delay_alu instid0(VALU_DEP_1) | instskip(NEXT) | instid1(VALU_DEP_1)
	v_or_b32_e32 v4, s11, v29
	v_cmpx_ne_u64_e32 0, v[3:4]
	s_xor_b32 s22, exec_lo, s3
	s_cbranch_execz .LBB37_12
; %bb.11:                               ;   in Loop: Header=BB37_10 Depth=2
	s_add_u32 s16, s10, s14
	s_mov_b32 s15, s14
	s_addc_u32 s17, s11, s14
	s_delay_alu instid0(SALU_CYCLE_1) | instskip(NEXT) | instid1(SALU_CYCLE_1)
	s_xor_b64 s[16:17], s[16:17], s[14:15]
	v_cvt_f32_u32_e32 v4, s16
	v_cvt_f32_u32_e32 v15, s17
	s_sub_u32 s3, 0, s16
	s_subb_u32 s15, 0, s17
	s_delay_alu instid0(VALU_DEP_1) | instskip(NEXT) | instid1(VALU_DEP_1)
	v_fmac_f32_e32 v4, 0x4f800000, v15
	v_rcp_f32_e32 v4, v4
	s_waitcnt_depctr 0xfff
	v_mul_f32_e32 v4, 0x5f7ffffc, v4
	s_delay_alu instid0(VALU_DEP_1) | instskip(NEXT) | instid1(VALU_DEP_1)
	v_mul_f32_e32 v15, 0x2f800000, v4
	v_trunc_f32_e32 v15, v15
	s_delay_alu instid0(VALU_DEP_1) | instskip(SKIP_1) | instid1(VALU_DEP_2)
	v_fmac_f32_e32 v4, 0xcf800000, v15
	v_cvt_u32_f32_e32 v15, v15
	v_cvt_u32_f32_e32 v4, v4
	s_delay_alu instid0(VALU_DEP_2) | instskip(NEXT) | instid1(VALU_DEP_2)
	v_mul_lo_u32 v16, s3, v15
	v_mul_hi_u32 v30, s3, v4
	v_mul_lo_u32 v31, s15, v4
	s_delay_alu instid0(VALU_DEP_2) | instskip(SKIP_1) | instid1(VALU_DEP_2)
	v_add_nc_u32_e32 v16, v30, v16
	v_mul_lo_u32 v30, s3, v4
	v_add_nc_u32_e32 v16, v16, v31
	s_delay_alu instid0(VALU_DEP_2) | instskip(NEXT) | instid1(VALU_DEP_2)
	v_mul_hi_u32 v31, v4, v30
	v_mul_lo_u32 v32, v4, v16
	v_mul_hi_u32 v33, v4, v16
	v_mul_hi_u32 v34, v15, v30
	v_mul_lo_u32 v30, v15, v30
	v_mul_hi_u32 v35, v15, v16
	v_mul_lo_u32 v16, v15, v16
	v_add_co_u32 v31, vcc_lo, v31, v32
	v_add_co_ci_u32_e32 v32, vcc_lo, 0, v33, vcc_lo
	s_delay_alu instid0(VALU_DEP_2) | instskip(NEXT) | instid1(VALU_DEP_2)
	v_add_co_u32 v30, vcc_lo, v31, v30
	v_add_co_ci_u32_e32 v30, vcc_lo, v32, v34, vcc_lo
	v_add_co_ci_u32_e32 v31, vcc_lo, 0, v35, vcc_lo
	v_ashrrev_i32_e32 v34, 31, v29
	s_delay_alu instid0(VALU_DEP_3) | instskip(NEXT) | instid1(VALU_DEP_3)
	v_add_co_u32 v16, vcc_lo, v30, v16
	v_add_co_ci_u32_e32 v30, vcc_lo, 0, v31, vcc_lo
	s_delay_alu instid0(VALU_DEP_2) | instskip(NEXT) | instid1(VALU_DEP_2)
	v_add_co_u32 v4, vcc_lo, v4, v16
	v_add_co_ci_u32_e32 v15, vcc_lo, v15, v30, vcc_lo
	s_delay_alu instid0(VALU_DEP_2) | instskip(SKIP_1) | instid1(VALU_DEP_3)
	v_mul_hi_u32 v16, s3, v4
	v_mul_lo_u32 v31, s15, v4
	v_mul_lo_u32 v30, s3, v15
	s_delay_alu instid0(VALU_DEP_1) | instskip(SKIP_1) | instid1(VALU_DEP_2)
	v_add_nc_u32_e32 v16, v16, v30
	v_mul_lo_u32 v30, s3, v4
	v_add_nc_u32_e32 v16, v16, v31
	s_delay_alu instid0(VALU_DEP_2) | instskip(NEXT) | instid1(VALU_DEP_2)
	v_mul_hi_u32 v31, v4, v30
	v_mul_lo_u32 v32, v4, v16
	v_mul_hi_u32 v33, v4, v16
	v_mul_hi_u32 v35, v15, v30
	v_mul_lo_u32 v30, v15, v30
	v_mul_hi_u32 v36, v15, v16
	v_mul_lo_u32 v16, v15, v16
	v_add_co_u32 v31, vcc_lo, v31, v32
	v_add_co_ci_u32_e32 v32, vcc_lo, 0, v33, vcc_lo
	s_delay_alu instid0(VALU_DEP_2) | instskip(NEXT) | instid1(VALU_DEP_2)
	v_add_co_u32 v30, vcc_lo, v31, v30
	v_add_co_ci_u32_e32 v30, vcc_lo, v32, v35, vcc_lo
	v_add_co_ci_u32_e32 v31, vcc_lo, 0, v36, vcc_lo
	v_add_co_u32 v28, vcc_lo, v28, v34
	v_add_co_ci_u32_e32 v29, vcc_lo, v29, v34, vcc_lo
	s_delay_alu instid0(VALU_DEP_4) | instskip(NEXT) | instid1(VALU_DEP_4)
	v_add_co_u32 v16, vcc_lo, v30, v16
	v_add_co_ci_u32_e32 v30, vcc_lo, 0, v31, vcc_lo
	s_delay_alu instid0(VALU_DEP_4) | instskip(NEXT) | instid1(VALU_DEP_3)
	v_xor_b32_e32 v32, v28, v34
	v_add_co_u32 v4, vcc_lo, v4, v16
	s_delay_alu instid0(VALU_DEP_3) | instskip(SKIP_1) | instid1(VALU_DEP_3)
	v_add_co_ci_u32_e32 v33, vcc_lo, v15, v30, vcc_lo
	v_xor_b32_e32 v35, v29, v34
	v_mul_hi_u32 v36, v32, v4
	s_delay_alu instid0(VALU_DEP_3) | instskip(NEXT) | instid1(VALU_DEP_3)
	v_mad_u64_u32 v[15:16], null, v32, v33, 0
	v_mad_u64_u32 v[28:29], null, v35, v4, 0
	;; [unrolled: 1-line block ×3, first 2 shown]
	s_delay_alu instid0(VALU_DEP_3) | instskip(NEXT) | instid1(VALU_DEP_4)
	v_add_co_u32 v4, vcc_lo, v36, v15
	v_add_co_ci_u32_e32 v15, vcc_lo, 0, v16, vcc_lo
	s_delay_alu instid0(VALU_DEP_2) | instskip(NEXT) | instid1(VALU_DEP_2)
	v_add_co_u32 v4, vcc_lo, v4, v28
	v_add_co_ci_u32_e32 v4, vcc_lo, v15, v29, vcc_lo
	v_add_co_ci_u32_e32 v15, vcc_lo, 0, v31, vcc_lo
	s_delay_alu instid0(VALU_DEP_2) | instskip(NEXT) | instid1(VALU_DEP_2)
	v_add_co_u32 v4, vcc_lo, v4, v30
	v_add_co_ci_u32_e32 v28, vcc_lo, 0, v15, vcc_lo
	s_delay_alu instid0(VALU_DEP_2) | instskip(SKIP_1) | instid1(VALU_DEP_3)
	v_mul_lo_u32 v29, s17, v4
	v_mad_u64_u32 v[15:16], null, s16, v4, 0
	v_mul_lo_u32 v30, s16, v28
	s_delay_alu instid0(VALU_DEP_2) | instskip(NEXT) | instid1(VALU_DEP_2)
	v_sub_co_u32 v15, vcc_lo, v32, v15
	v_add3_u32 v16, v16, v30, v29
	s_delay_alu instid0(VALU_DEP_1) | instskip(NEXT) | instid1(VALU_DEP_1)
	v_sub_nc_u32_e32 v29, v35, v16
	v_subrev_co_ci_u32_e64 v29, s3, s17, v29, vcc_lo
	v_add_co_u32 v30, s3, v4, 2
	s_delay_alu instid0(VALU_DEP_1) | instskip(SKIP_3) | instid1(VALU_DEP_3)
	v_add_co_ci_u32_e64 v31, s3, 0, v28, s3
	v_sub_co_u32 v32, s3, v15, s16
	v_sub_co_ci_u32_e32 v16, vcc_lo, v35, v16, vcc_lo
	v_subrev_co_ci_u32_e64 v29, s3, 0, v29, s3
	v_cmp_le_u32_e32 vcc_lo, s16, v32
	s_delay_alu instid0(VALU_DEP_3) | instskip(SKIP_1) | instid1(VALU_DEP_4)
	v_cmp_eq_u32_e64 s3, s17, v16
	v_cndmask_b32_e64 v32, 0, -1, vcc_lo
	v_cmp_le_u32_e32 vcc_lo, s17, v29
	v_cndmask_b32_e64 v33, 0, -1, vcc_lo
	v_cmp_le_u32_e32 vcc_lo, s16, v15
	;; [unrolled: 2-line block ×3, first 2 shown]
	v_cndmask_b32_e64 v35, 0, -1, vcc_lo
	v_cmp_eq_u32_e32 vcc_lo, s17, v29
	s_delay_alu instid0(VALU_DEP_2) | instskip(SKIP_3) | instid1(VALU_DEP_3)
	v_cndmask_b32_e64 v15, v35, v15, s3
	v_cndmask_b32_e32 v29, v33, v32, vcc_lo
	v_add_co_u32 v32, vcc_lo, v4, 1
	v_add_co_ci_u32_e32 v33, vcc_lo, 0, v28, vcc_lo
	v_cmp_ne_u32_e32 vcc_lo, 0, v29
	s_delay_alu instid0(VALU_DEP_2) | instskip(SKIP_2) | instid1(VALU_DEP_3)
	v_dual_cndmask_b32 v16, v33, v31 :: v_dual_cndmask_b32 v29, v32, v30
	v_cmp_ne_u32_e32 vcc_lo, 0, v15
	v_xor_b32_e32 v30, s14, v34
	v_cndmask_b32_e32 v15, v28, v16, vcc_lo
	s_delay_alu instid0(VALU_DEP_4) | instskip(NEXT) | instid1(VALU_DEP_2)
	v_cndmask_b32_e32 v4, v4, v29, vcc_lo
                                        ; implicit-def: $vgpr28
	v_xor_b32_e32 v16, v15, v30
	s_delay_alu instid0(VALU_DEP_2) | instskip(NEXT) | instid1(VALU_DEP_1)
	v_xor_b32_e32 v4, v4, v30
	v_sub_co_u32 v15, vcc_lo, v4, v30
	s_delay_alu instid0(VALU_DEP_3)
	v_sub_co_ci_u32_e32 v16, vcc_lo, v16, v30, vcc_lo
.LBB37_12:                              ;   in Loop: Header=BB37_10 Depth=2
	s_and_not1_saveexec_b32 s3, s22
	s_cbranch_execz .LBB37_14
; %bb.13:                               ;   in Loop: Header=BB37_10 Depth=2
	v_cvt_f32_u32_e32 v4, s10
	s_delay_alu instid0(VALU_DEP_1) | instskip(SKIP_2) | instid1(VALU_DEP_1)
	v_rcp_iflag_f32_e32 v4, v4
	s_waitcnt_depctr 0xfff
	v_mul_f32_e32 v4, 0x4f7ffffe, v4
	v_cvt_u32_f32_e32 v4, v4
	s_delay_alu instid0(VALU_DEP_1) | instskip(NEXT) | instid1(VALU_DEP_1)
	v_mul_lo_u32 v15, s19, v4
	v_mul_hi_u32 v15, v4, v15
	s_delay_alu instid0(VALU_DEP_1) | instskip(NEXT) | instid1(VALU_DEP_1)
	v_add_nc_u32_e32 v4, v4, v15
	v_mul_hi_u32 v4, v28, v4
	s_delay_alu instid0(VALU_DEP_1) | instskip(SKIP_1) | instid1(VALU_DEP_2)
	v_mul_lo_u32 v15, v4, s10
	v_add_nc_u32_e32 v16, 1, v4
	v_sub_nc_u32_e32 v15, v28, v15
	s_delay_alu instid0(VALU_DEP_1) | instskip(SKIP_1) | instid1(VALU_DEP_2)
	v_subrev_nc_u32_e32 v28, s10, v15
	v_cmp_le_u32_e32 vcc_lo, s10, v15
	v_cndmask_b32_e32 v15, v15, v28, vcc_lo
	v_cndmask_b32_e32 v4, v4, v16, vcc_lo
	s_delay_alu instid0(VALU_DEP_2) | instskip(NEXT) | instid1(VALU_DEP_2)
	v_cmp_le_u32_e32 vcc_lo, s10, v15
	v_add_nc_u32_e32 v16, 1, v4
	s_delay_alu instid0(VALU_DEP_1)
	v_dual_cndmask_b32 v15, v4, v16 :: v_dual_mov_b32 v16, v3
.LBB37_14:                              ;   in Loop: Header=BB37_10 Depth=2
	s_or_b32 exec_lo, exec_lo, s3
	s_delay_alu instid0(VALU_DEP_1)
	v_cmp_eq_u64_e32 vcc_lo, v[15:16], v[7:8]
	s_mov_b32 s15, exec_lo
	v_cmpx_ne_u64_e64 v[15:16], v[7:8]
	s_xor_b32 s15, exec_lo, s15
; %bb.15:                               ;   in Loop: Header=BB37_10 Depth=2
	v_cmp_lt_i64_e64 s3, v[15:16], v[5:6]
                                        ; implicit-def: $vgpr13_vgpr14
	s_delay_alu instid0(VALU_DEP_1)
	v_cndmask_b32_e64 v6, v6, v16, s3
	v_cndmask_b32_e64 v5, v5, v15, s3
; %bb.16:                               ;   in Loop: Header=BB37_10 Depth=2
	s_or_saveexec_b32 s3, s15
	v_dual_mov_b32 v16, v10 :: v_dual_mov_b32 v15, v9
	s_xor_b32 exec_lo, exec_lo, s3
	s_cbranch_execz .LBB37_9
; %bb.17:                               ;   in Loop: Header=BB37_10 Depth=2
	v_dual_mov_b32 v16, v14 :: v_dual_mov_b32 v15, v13
	ds_store_b8 v17, v27 offset:64
	s_branch .LBB37_9
.LBB37_18:                              ;   in Loop: Header=BB37_7 Depth=1
	s_or_b32 exec_lo, exec_lo, s21
.LBB37_19:                              ;   in Loop: Header=BB37_7 Depth=1
	s_delay_alu instid0(SALU_CYCLE_1)
	s_or_b32 exec_lo, exec_lo, s20
	ds_bpermute_b32 v7, v20, v15
	ds_bpermute_b32 v8, v20, v16
	s_waitcnt lgkmcnt(0)
	buffer_gl0_inv
	ds_load_u8 v4, v17 offset:64
	v_cmp_lt_i64_e32 vcc_lo, v[7:8], v[15:16]
	s_waitcnt lgkmcnt(0)
	v_and_b32_e32 v4, 1, v4
	v_dual_cndmask_b32 v8, v16, v8 :: v_dual_cndmask_b32 v7, v15, v7
	ds_bpermute_b32 v10, v21, v8
	ds_bpermute_b32 v9, v21, v7
	s_waitcnt lgkmcnt(0)
	v_cmp_lt_i64_e32 vcc_lo, v[9:10], v[7:8]
	v_dual_cndmask_b32 v8, v8, v10 :: v_dual_cndmask_b32 v7, v7, v9
	v_cmp_eq_u32_e32 vcc_lo, 1, v4
	ds_bpermute_b32 v10, v22, v8
	ds_bpermute_b32 v9, v22, v7
	s_and_b32 s15, s2, vcc_lo
	s_delay_alu instid0(SALU_CYCLE_1)
	s_and_saveexec_b32 s3, s15
	s_cbranch_execz .LBB37_6
; %bb.20:                               ;   in Loop: Header=BB37_7 Depth=1
	ds_load_b64 v[7:8], v18
	s_waitcnt lgkmcnt(0)
	v_add_co_u32 v7, vcc_lo, v7, 1
	v_add_co_ci_u32_e32 v8, vcc_lo, 0, v8, vcc_lo
	ds_store_b64 v18, v[7:8]
	s_branch .LBB37_6
.LBB37_21:
	s_or_b32 exec_lo, exec_lo, s18
.LBB37_22:
	s_delay_alu instid0(SALU_CYCLE_1)
	s_mov_b32 s2, exec_lo
	v_cmpx_eq_u32_e32 0, v19
	s_cbranch_execz .LBB37_25
; %bb.23:
	s_clause 0x1
	s_load_b32 s2, s[0:1], 0x40
	s_load_b64 s[0:1], s[0:1], 0x48
	s_waitcnt lgkmcnt(0)
	v_dual_mov_b32 v1, 0 :: v_dual_mov_b32 v0, s2
	global_store_b64 v1, v[0:1], s[0:1]
	v_lshl_or_b32 v0, s8, 3, v17
	s_delay_alu instid0(VALU_DEP_1)
	v_cmp_gt_i64_e32 vcc_lo, s[4:5], v[0:1]
	s_and_b32 exec_lo, exec_lo, vcc_lo
	s_cbranch_execz .LBB37_25
; %bb.24:
	ds_load_b64 v[2:3], v18
	v_add_nc_u32_e32 v0, 1, v0
	s_delay_alu instid0(VALU_DEP_1) | instskip(NEXT) | instid1(VALU_DEP_1)
	v_lshlrev_b64 v[0:1], 3, v[0:1]
	v_add_co_u32 v0, vcc_lo, s0, v0
	s_delay_alu instid0(VALU_DEP_2)
	v_add_co_ci_u32_e32 v1, vcc_lo, s1, v1, vcc_lo
	s_waitcnt lgkmcnt(0)
	global_store_b64 v[0:1], v[2:3], off
.LBB37_25:
	s_nop 0
	s_sendmsg sendmsg(MSG_DEALLOC_VGPRS)
	s_endpgm
	.section	.rodata,"a",@progbits
	.p2align	6, 0x0
	.amdhsa_kernel _ZN9rocsparseL46csr2bsr_nnz_wavefront_per_row_multipass_kernelILj256ELj32ELj8EllEEvT3_S1_S1_S1_S1_21rocsparse_index_base_PKT2_PKS1_S2_PS3_
		.amdhsa_group_segment_fixed_size 72
		.amdhsa_private_segment_fixed_size 0
		.amdhsa_kernarg_size 80
		.amdhsa_user_sgpr_count 15
		.amdhsa_user_sgpr_dispatch_ptr 0
		.amdhsa_user_sgpr_queue_ptr 0
		.amdhsa_user_sgpr_kernarg_segment_ptr 1
		.amdhsa_user_sgpr_dispatch_id 0
		.amdhsa_user_sgpr_private_segment_size 0
		.amdhsa_wavefront_size32 1
		.amdhsa_uses_dynamic_stack 0
		.amdhsa_enable_private_segment 0
		.amdhsa_system_sgpr_workgroup_id_x 1
		.amdhsa_system_sgpr_workgroup_id_y 0
		.amdhsa_system_sgpr_workgroup_id_z 0
		.amdhsa_system_sgpr_workgroup_info 0
		.amdhsa_system_vgpr_workitem_id 0
		.amdhsa_next_free_vgpr 37
		.amdhsa_next_free_sgpr 23
		.amdhsa_reserve_vcc 1
		.amdhsa_float_round_mode_32 0
		.amdhsa_float_round_mode_16_64 0
		.amdhsa_float_denorm_mode_32 3
		.amdhsa_float_denorm_mode_16_64 3
		.amdhsa_dx10_clamp 1
		.amdhsa_ieee_mode 1
		.amdhsa_fp16_overflow 0
		.amdhsa_workgroup_processor_mode 1
		.amdhsa_memory_ordered 1
		.amdhsa_forward_progress 0
		.amdhsa_shared_vgpr_count 0
		.amdhsa_exception_fp_ieee_invalid_op 0
		.amdhsa_exception_fp_denorm_src 0
		.amdhsa_exception_fp_ieee_div_zero 0
		.amdhsa_exception_fp_ieee_overflow 0
		.amdhsa_exception_fp_ieee_underflow 0
		.amdhsa_exception_fp_ieee_inexact 0
		.amdhsa_exception_int_div_zero 0
	.end_amdhsa_kernel
	.section	.text._ZN9rocsparseL46csr2bsr_nnz_wavefront_per_row_multipass_kernelILj256ELj32ELj8EllEEvT3_S1_S1_S1_S1_21rocsparse_index_base_PKT2_PKS1_S2_PS3_,"axG",@progbits,_ZN9rocsparseL46csr2bsr_nnz_wavefront_per_row_multipass_kernelILj256ELj32ELj8EllEEvT3_S1_S1_S1_S1_21rocsparse_index_base_PKT2_PKS1_S2_PS3_,comdat
.Lfunc_end37:
	.size	_ZN9rocsparseL46csr2bsr_nnz_wavefront_per_row_multipass_kernelILj256ELj32ELj8EllEEvT3_S1_S1_S1_S1_21rocsparse_index_base_PKT2_PKS1_S2_PS3_, .Lfunc_end37-_ZN9rocsparseL46csr2bsr_nnz_wavefront_per_row_multipass_kernelILj256ELj32ELj8EllEEvT3_S1_S1_S1_S1_21rocsparse_index_base_PKT2_PKS1_S2_PS3_
                                        ; -- End function
	.section	.AMDGPU.csdata,"",@progbits
; Kernel info:
; codeLenInByte = 2324
; NumSgprs: 25
; NumVgprs: 37
; ScratchSize: 0
; MemoryBound: 0
; FloatMode: 240
; IeeeMode: 1
; LDSByteSize: 72 bytes/workgroup (compile time only)
; SGPRBlocks: 3
; VGPRBlocks: 4
; NumSGPRsForWavesPerEU: 25
; NumVGPRsForWavesPerEU: 37
; Occupancy: 16
; WaveLimiterHint : 0
; COMPUTE_PGM_RSRC2:SCRATCH_EN: 0
; COMPUTE_PGM_RSRC2:USER_SGPR: 15
; COMPUTE_PGM_RSRC2:TRAP_HANDLER: 0
; COMPUTE_PGM_RSRC2:TGID_X_EN: 1
; COMPUTE_PGM_RSRC2:TGID_Y_EN: 0
; COMPUTE_PGM_RSRC2:TGID_Z_EN: 0
; COMPUTE_PGM_RSRC2:TIDIG_COMP_CNT: 0
	.section	.text._ZN9rocsparseL46csr2bsr_nnz_wavefront_per_row_multipass_kernelILj256ELj64ELj16EllEEvT3_S1_S1_S1_S1_21rocsparse_index_base_PKT2_PKS1_S2_PS3_,"axG",@progbits,_ZN9rocsparseL46csr2bsr_nnz_wavefront_per_row_multipass_kernelILj256ELj64ELj16EllEEvT3_S1_S1_S1_S1_21rocsparse_index_base_PKT2_PKS1_S2_PS3_,comdat
	.globl	_ZN9rocsparseL46csr2bsr_nnz_wavefront_per_row_multipass_kernelILj256ELj64ELj16EllEEvT3_S1_S1_S1_S1_21rocsparse_index_base_PKT2_PKS1_S2_PS3_ ; -- Begin function _ZN9rocsparseL46csr2bsr_nnz_wavefront_per_row_multipass_kernelILj256ELj64ELj16EllEEvT3_S1_S1_S1_S1_21rocsparse_index_base_PKT2_PKS1_S2_PS3_
	.p2align	8
	.type	_ZN9rocsparseL46csr2bsr_nnz_wavefront_per_row_multipass_kernelILj256ELj64ELj16EllEEvT3_S1_S1_S1_S1_21rocsparse_index_base_PKT2_PKS1_S2_PS3_,@function
_ZN9rocsparseL46csr2bsr_nnz_wavefront_per_row_multipass_kernelILj256ELj64ELj16EllEEvT3_S1_S1_S1_S1_21rocsparse_index_base_PKT2_PKS1_S2_PS3_: ; @_ZN9rocsparseL46csr2bsr_nnz_wavefront_per_row_multipass_kernelILj256ELj64ELj16EllEEvT3_S1_S1_S1_S1_21rocsparse_index_base_PKT2_PKS1_S2_PS3_
; %bb.0:
	s_load_b64 s[10:11], s[0:1], 0x20
	v_lshrrev_b32_e32 v17, 6, v0
	s_mov_b32 s8, s15
	s_ashr_i32 s9, s15, 31
	s_clause 0x1
	s_load_b64 s[14:15], s[0:1], 0x0
	s_load_b128 s[4:7], s[0:1], 0x10
	s_lshl_b64 s[2:3], s[8:9], 2
	v_mov_b32_e32 v6, 0
	v_or_b32_e32 v1, s2, v17
	v_bfe_u32 v5, v0, 2, 4
	s_clause 0x1
	s_load_b32 s9, s[0:1], 0x28
	s_load_b64 s[12:13], s[0:1], 0x30
	v_lshlrev_b32_e32 v18, 3, v17
	s_waitcnt lgkmcnt(0)
	v_mul_lo_u32 v7, v1, s11
	v_mad_u64_u32 v[3:4], null, v1, s10, v[5:6]
	v_mov_b32_e32 v1, 0
	s_mul_i32 s2, s3, s10
	v_mov_b32_e32 v2, 0
	s_delay_alu instid0(VALU_DEP_3) | instskip(SKIP_2) | instid1(VALU_DEP_4)
	v_add3_u32 v4, s2, v4, v7
	v_mov_b32_e32 v7, v6
	v_cmp_gt_i64_e64 s2, s[10:11], v[5:6]
	v_mov_b32_e32 v10, v2
	v_dual_mov_b32 v8, v6 :: v_dual_mov_b32 v9, v1
	v_cmp_gt_i64_e32 vcc_lo, s[14:15], v[3:4]
	ds_store_b64 v18, v[7:8]
	s_waitcnt lgkmcnt(0)
	s_barrier
	s_and_b32 s2, s2, vcc_lo
	buffer_gl0_inv
	s_and_saveexec_b32 s3, s2
	s_cbranch_execz .LBB38_2
; %bb.1:
	v_lshlrev_b64 v[5:6], 3, v[3:4]
	s_delay_alu instid0(VALU_DEP_1) | instskip(NEXT) | instid1(VALU_DEP_2)
	v_add_co_u32 v5, vcc_lo, s12, v5
	v_add_co_ci_u32_e32 v6, vcc_lo, s13, v6, vcc_lo
	global_load_b64 v[5:6], v[5:6], off
	s_waitcnt vmcnt(0)
	v_sub_co_u32 v9, vcc_lo, v5, s9
	v_subrev_co_ci_u32_e32 v10, vcc_lo, 0, v6, vcc_lo
.LBB38_2:
	s_or_b32 exec_lo, exec_lo, s3
	s_and_saveexec_b32 s3, s2
	s_cbranch_execz .LBB38_4
; %bb.3:
	v_lshlrev_b64 v[1:2], 3, v[3:4]
	s_delay_alu instid0(VALU_DEP_1) | instskip(NEXT) | instid1(VALU_DEP_2)
	v_add_co_u32 v1, vcc_lo, s12, v1
	v_add_co_ci_u32_e32 v2, vcc_lo, s13, v2, vcc_lo
	global_load_b64 v[1:2], v[1:2], off offset:8
	s_waitcnt vmcnt(0)
	v_sub_co_u32 v1, vcc_lo, v1, s9
	v_subrev_co_ci_u32_e32 v2, vcc_lo, 0, v2, vcc_lo
.LBB38_4:
	s_or_b32 exec_lo, exec_lo, s3
	v_cmp_lt_i64_e64 s2, s[6:7], 1
	v_and_b32_e32 v19, 63, v0
	s_delay_alu instid0(VALU_DEP_2) | instskip(NEXT) | instid1(VALU_DEP_1)
	s_and_b32 vcc_lo, exec_lo, s2
	v_cmp_eq_u32_e64 s2, 0, v19
	s_cbranch_vccnz .LBB38_22
; %bb.5:
	v_mbcnt_lo_u32_b32 v4, -1, 0
	s_load_b64 s[12:13], s[0:1], 0x38
	v_dual_mov_b32 v3, 0 :: v_dual_and_b32 v0, 3, v0
	v_bfrev_b32_e32 v27, 0.5
	s_delay_alu instid0(VALU_DEP_3)
	v_xor_b32_e32 v5, 2, v4
	v_xor_b32_e32 v6, 1, v4
	v_or_b32_e32 v7, 32, v4
	v_xor_b32_e32 v8, 16, v4
	v_xor_b32_e32 v11, 8, v4
	v_cmp_gt_i32_e32 vcc_lo, 32, v5
	v_lshl_or_b32 v22, v4, 2, 12
	s_mov_b32 s18, 0
	s_ashr_i32 s14, s11, 31
	s_sub_i32 s19, 0, s10
	v_cndmask_b32_e32 v5, v4, v5, vcc_lo
	v_cmp_gt_i32_e32 vcc_lo, 32, v6
	v_mov_b32_e32 v28, 1
	v_cndmask_b32_e32 v6, v4, v6, vcc_lo
	v_cmp_gt_i32_e32 vcc_lo, 32, v7
	v_dual_cndmask_b32 v5, v4, v7 :: v_dual_lshlrev_b32 v20, 2, v5
	v_cmp_gt_i32_e32 vcc_lo, 32, v8
	s_delay_alu instid0(VALU_DEP_2)
	v_lshlrev_b32_e32 v23, 2, v5
	v_cndmask_b32_e32 v7, v4, v8, vcc_lo
	v_cmp_gt_i32_e32 vcc_lo, 32, v11
	v_lshlrev_b32_e32 v21, 2, v6
	v_xor_b32_e32 v6, 4, v4
	v_cndmask_b32_e32 v8, v4, v11, vcc_lo
	s_delay_alu instid0(VALU_DEP_2) | instskip(NEXT) | instid1(VALU_DEP_2)
	v_cmp_gt_i32_e32 vcc_lo, 32, v6
	v_dual_cndmask_b32 v6, v4, v6 :: v_dual_lshlrev_b32 v25, 2, v8
	s_delay_alu instid0(VALU_DEP_1)
	v_lshlrev_b32_e32 v26, 2, v6
	v_dual_mov_b32 v7, 0 :: v_dual_lshlrev_b32 v24, 2, v7
	v_mov_b32_e32 v8, 0
	s_branch .LBB38_7
.LBB38_6:                               ;   in Loop: Header=BB38_7 Depth=1
	s_or_b32 exec_lo, exec_lo, s3
	ds_bpermute_b32 v7, v23, v5
	ds_bpermute_b32 v8, v23, v6
	s_waitcnt lgkmcnt(0)
	buffer_gl0_inv
	v_cmp_lt_i64_e32 vcc_lo, v[7:8], v[5:6]
	v_dual_cndmask_b32 v6, v6, v8 :: v_dual_cndmask_b32 v5, v5, v7
	ds_bpermute_b32 v8, v24, v6
	ds_bpermute_b32 v7, v24, v5
	s_waitcnt lgkmcnt(0)
	v_cmp_lt_i64_e32 vcc_lo, v[7:8], v[5:6]
	v_dual_cndmask_b32 v6, v6, v8 :: v_dual_cndmask_b32 v5, v5, v7
	ds_bpermute_b32 v8, v25, v6
	ds_bpermute_b32 v7, v25, v5
	s_waitcnt lgkmcnt(0)
	;; [unrolled: 5-line block ×6, first 2 shown]
	v_cmp_le_i64_e32 vcc_lo, s[6:7], v[7:8]
	s_or_b32 s18, vcc_lo, s18
	s_delay_alu instid0(SALU_CYCLE_1)
	s_and_not1_b32 exec_lo, exec_lo, s18
	s_cbranch_execz .LBB38_21
.LBB38_7:                               ; =>This Loop Header: Depth=1
                                        ;     Child Loop BB38_10 Depth 2
	v_add_co_u32 v9, vcc_lo, v9, v0
	v_add_co_ci_u32_e32 v10, vcc_lo, 0, v10, vcc_lo
	v_dual_mov_b32 v5, s6 :: v_dual_mov_b32 v6, s7
	v_dual_mov_b32 v16, v2 :: v_dual_mov_b32 v15, v1
	s_mov_b32 s20, exec_lo
	ds_store_b8 v17, v3 offset:32
	s_waitcnt lgkmcnt(0)
	buffer_gl0_inv
	v_cmpx_lt_i64_e64 v[9:10], v[1:2]
	s_cbranch_execz .LBB38_19
; %bb.8:                                ;   in Loop: Header=BB38_7 Depth=1
	v_lshlrev_b64 v[11:12], 3, v[9:10]
	v_dual_mov_b32 v5, s6 :: v_dual_mov_b32 v6, s7
	v_dual_mov_b32 v14, v2 :: v_dual_mov_b32 v13, v1
	s_mov_b32 s21, 0
	s_delay_alu instid0(VALU_DEP_3) | instskip(NEXT) | instid1(VALU_DEP_4)
	v_add_co_u32 v11, vcc_lo, s12, v11
	v_add_co_ci_u32_e32 v12, vcc_lo, s13, v12, vcc_lo
	s_branch .LBB38_10
.LBB38_9:                               ;   in Loop: Header=BB38_10 Depth=2
	s_or_b32 exec_lo, exec_lo, s3
	v_add_co_u32 v9, s3, v9, 4
	s_delay_alu instid0(VALU_DEP_1) | instskip(SKIP_2) | instid1(VALU_DEP_2)
	v_add_co_ci_u32_e64 v10, s3, 0, v10, s3
	s_xor_b32 s15, vcc_lo, -1
	v_add_co_u32 v11, vcc_lo, v11, 32
	v_cmp_ge_i64_e64 s3, v[9:10], v[1:2]
	v_add_co_ci_u32_e32 v12, vcc_lo, 0, v12, vcc_lo
	v_dual_mov_b32 v13, v15 :: v_dual_mov_b32 v14, v16
	s_delay_alu instid0(VALU_DEP_3) | instskip(NEXT) | instid1(SALU_CYCLE_1)
	s_or_b32 s3, s15, s3
	s_and_b32 s3, exec_lo, s3
	s_delay_alu instid0(SALU_CYCLE_1) | instskip(NEXT) | instid1(SALU_CYCLE_1)
	s_or_b32 s21, s3, s21
	s_and_not1_b32 exec_lo, exec_lo, s21
	s_cbranch_execz .LBB38_18
.LBB38_10:                              ;   Parent Loop BB38_7 Depth=1
                                        ; =>  This Inner Loop Header: Depth=2
	global_load_b64 v[15:16], v[11:12], off
	s_mov_b32 s3, exec_lo
	s_waitcnt vmcnt(0)
	v_sub_co_u32 v29, vcc_lo, v15, s9
	v_subrev_co_ci_u32_e32 v30, vcc_lo, 0, v16, vcc_lo
                                        ; implicit-def: $vgpr15_vgpr16
	s_delay_alu instid0(VALU_DEP_1) | instskip(NEXT) | instid1(VALU_DEP_1)
	v_or_b32_e32 v4, s11, v30
	v_cmpx_ne_u64_e32 0, v[3:4]
	s_xor_b32 s22, exec_lo, s3
	s_cbranch_execz .LBB38_12
; %bb.11:                               ;   in Loop: Header=BB38_10 Depth=2
	s_add_u32 s16, s10, s14
	s_mov_b32 s15, s14
	s_addc_u32 s17, s11, s14
	s_delay_alu instid0(SALU_CYCLE_1) | instskip(NEXT) | instid1(SALU_CYCLE_1)
	s_xor_b64 s[16:17], s[16:17], s[14:15]
	v_cvt_f32_u32_e32 v4, s16
	v_cvt_f32_u32_e32 v15, s17
	s_sub_u32 s3, 0, s16
	s_subb_u32 s15, 0, s17
	s_delay_alu instid0(VALU_DEP_1) | instskip(NEXT) | instid1(VALU_DEP_1)
	v_fmac_f32_e32 v4, 0x4f800000, v15
	v_rcp_f32_e32 v4, v4
	s_waitcnt_depctr 0xfff
	v_mul_f32_e32 v4, 0x5f7ffffc, v4
	s_delay_alu instid0(VALU_DEP_1) | instskip(NEXT) | instid1(VALU_DEP_1)
	v_mul_f32_e32 v15, 0x2f800000, v4
	v_trunc_f32_e32 v15, v15
	s_delay_alu instid0(VALU_DEP_1) | instskip(SKIP_1) | instid1(VALU_DEP_2)
	v_fmac_f32_e32 v4, 0xcf800000, v15
	v_cvt_u32_f32_e32 v15, v15
	v_cvt_u32_f32_e32 v4, v4
	s_delay_alu instid0(VALU_DEP_2) | instskip(NEXT) | instid1(VALU_DEP_2)
	v_mul_lo_u32 v16, s3, v15
	v_mul_hi_u32 v31, s3, v4
	v_mul_lo_u32 v32, s15, v4
	s_delay_alu instid0(VALU_DEP_2) | instskip(SKIP_1) | instid1(VALU_DEP_2)
	v_add_nc_u32_e32 v16, v31, v16
	v_mul_lo_u32 v31, s3, v4
	v_add_nc_u32_e32 v16, v16, v32
	s_delay_alu instid0(VALU_DEP_2) | instskip(NEXT) | instid1(VALU_DEP_2)
	v_mul_hi_u32 v32, v4, v31
	v_mul_lo_u32 v33, v4, v16
	v_mul_hi_u32 v34, v4, v16
	v_mul_hi_u32 v35, v15, v31
	v_mul_lo_u32 v31, v15, v31
	v_mul_hi_u32 v36, v15, v16
	v_mul_lo_u32 v16, v15, v16
	v_add_co_u32 v32, vcc_lo, v32, v33
	v_add_co_ci_u32_e32 v33, vcc_lo, 0, v34, vcc_lo
	s_delay_alu instid0(VALU_DEP_2) | instskip(NEXT) | instid1(VALU_DEP_2)
	v_add_co_u32 v31, vcc_lo, v32, v31
	v_add_co_ci_u32_e32 v31, vcc_lo, v33, v35, vcc_lo
	v_add_co_ci_u32_e32 v32, vcc_lo, 0, v36, vcc_lo
	v_ashrrev_i32_e32 v35, 31, v30
	s_delay_alu instid0(VALU_DEP_3) | instskip(NEXT) | instid1(VALU_DEP_3)
	v_add_co_u32 v16, vcc_lo, v31, v16
	v_add_co_ci_u32_e32 v31, vcc_lo, 0, v32, vcc_lo
	s_delay_alu instid0(VALU_DEP_2) | instskip(NEXT) | instid1(VALU_DEP_2)
	v_add_co_u32 v4, vcc_lo, v4, v16
	v_add_co_ci_u32_e32 v15, vcc_lo, v15, v31, vcc_lo
	s_delay_alu instid0(VALU_DEP_2) | instskip(SKIP_1) | instid1(VALU_DEP_3)
	v_mul_hi_u32 v16, s3, v4
	v_mul_lo_u32 v32, s15, v4
	v_mul_lo_u32 v31, s3, v15
	s_delay_alu instid0(VALU_DEP_1) | instskip(SKIP_1) | instid1(VALU_DEP_2)
	v_add_nc_u32_e32 v16, v16, v31
	v_mul_lo_u32 v31, s3, v4
	v_add_nc_u32_e32 v16, v16, v32
	s_delay_alu instid0(VALU_DEP_2) | instskip(NEXT) | instid1(VALU_DEP_2)
	v_mul_hi_u32 v32, v4, v31
	v_mul_lo_u32 v33, v4, v16
	v_mul_hi_u32 v34, v4, v16
	v_mul_hi_u32 v36, v15, v31
	v_mul_lo_u32 v31, v15, v31
	v_mul_hi_u32 v37, v15, v16
	v_mul_lo_u32 v16, v15, v16
	v_add_co_u32 v32, vcc_lo, v32, v33
	v_add_co_ci_u32_e32 v33, vcc_lo, 0, v34, vcc_lo
	s_delay_alu instid0(VALU_DEP_2) | instskip(NEXT) | instid1(VALU_DEP_2)
	v_add_co_u32 v31, vcc_lo, v32, v31
	v_add_co_ci_u32_e32 v31, vcc_lo, v33, v36, vcc_lo
	v_add_co_ci_u32_e32 v32, vcc_lo, 0, v37, vcc_lo
	v_add_co_u32 v29, vcc_lo, v29, v35
	v_add_co_ci_u32_e32 v30, vcc_lo, v30, v35, vcc_lo
	s_delay_alu instid0(VALU_DEP_4) | instskip(NEXT) | instid1(VALU_DEP_4)
	v_add_co_u32 v16, vcc_lo, v31, v16
	v_add_co_ci_u32_e32 v31, vcc_lo, 0, v32, vcc_lo
	s_delay_alu instid0(VALU_DEP_4) | instskip(NEXT) | instid1(VALU_DEP_3)
	v_xor_b32_e32 v33, v29, v35
	v_add_co_u32 v4, vcc_lo, v4, v16
	s_delay_alu instid0(VALU_DEP_3) | instskip(SKIP_1) | instid1(VALU_DEP_3)
	v_add_co_ci_u32_e32 v34, vcc_lo, v15, v31, vcc_lo
	v_xor_b32_e32 v36, v30, v35
	v_mul_hi_u32 v37, v33, v4
	s_delay_alu instid0(VALU_DEP_3) | instskip(NEXT) | instid1(VALU_DEP_3)
	v_mad_u64_u32 v[15:16], null, v33, v34, 0
	v_mad_u64_u32 v[29:30], null, v36, v4, 0
	;; [unrolled: 1-line block ×3, first 2 shown]
	s_delay_alu instid0(VALU_DEP_3) | instskip(NEXT) | instid1(VALU_DEP_4)
	v_add_co_u32 v4, vcc_lo, v37, v15
	v_add_co_ci_u32_e32 v15, vcc_lo, 0, v16, vcc_lo
	s_delay_alu instid0(VALU_DEP_2) | instskip(NEXT) | instid1(VALU_DEP_2)
	v_add_co_u32 v4, vcc_lo, v4, v29
	v_add_co_ci_u32_e32 v4, vcc_lo, v15, v30, vcc_lo
	v_add_co_ci_u32_e32 v15, vcc_lo, 0, v32, vcc_lo
	s_delay_alu instid0(VALU_DEP_2) | instskip(NEXT) | instid1(VALU_DEP_2)
	v_add_co_u32 v4, vcc_lo, v4, v31
	v_add_co_ci_u32_e32 v29, vcc_lo, 0, v15, vcc_lo
	s_delay_alu instid0(VALU_DEP_2) | instskip(SKIP_1) | instid1(VALU_DEP_3)
	v_mul_lo_u32 v30, s17, v4
	v_mad_u64_u32 v[15:16], null, s16, v4, 0
	v_mul_lo_u32 v31, s16, v29
	s_delay_alu instid0(VALU_DEP_2) | instskip(NEXT) | instid1(VALU_DEP_2)
	v_sub_co_u32 v15, vcc_lo, v33, v15
	v_add3_u32 v16, v16, v31, v30
	s_delay_alu instid0(VALU_DEP_1) | instskip(NEXT) | instid1(VALU_DEP_1)
	v_sub_nc_u32_e32 v30, v36, v16
	v_subrev_co_ci_u32_e64 v30, s3, s17, v30, vcc_lo
	v_add_co_u32 v31, s3, v4, 2
	s_delay_alu instid0(VALU_DEP_1) | instskip(SKIP_3) | instid1(VALU_DEP_3)
	v_add_co_ci_u32_e64 v32, s3, 0, v29, s3
	v_sub_co_u32 v33, s3, v15, s16
	v_sub_co_ci_u32_e32 v16, vcc_lo, v36, v16, vcc_lo
	v_subrev_co_ci_u32_e64 v30, s3, 0, v30, s3
	v_cmp_le_u32_e32 vcc_lo, s16, v33
	s_delay_alu instid0(VALU_DEP_3) | instskip(SKIP_1) | instid1(VALU_DEP_4)
	v_cmp_eq_u32_e64 s3, s17, v16
	v_cndmask_b32_e64 v33, 0, -1, vcc_lo
	v_cmp_le_u32_e32 vcc_lo, s17, v30
	v_cndmask_b32_e64 v34, 0, -1, vcc_lo
	v_cmp_le_u32_e32 vcc_lo, s16, v15
	;; [unrolled: 2-line block ×3, first 2 shown]
	v_cndmask_b32_e64 v36, 0, -1, vcc_lo
	v_cmp_eq_u32_e32 vcc_lo, s17, v30
	s_delay_alu instid0(VALU_DEP_2) | instskip(SKIP_3) | instid1(VALU_DEP_3)
	v_cndmask_b32_e64 v15, v36, v15, s3
	v_cndmask_b32_e32 v30, v34, v33, vcc_lo
	v_add_co_u32 v33, vcc_lo, v4, 1
	v_add_co_ci_u32_e32 v34, vcc_lo, 0, v29, vcc_lo
	v_cmp_ne_u32_e32 vcc_lo, 0, v30
	s_delay_alu instid0(VALU_DEP_2) | instskip(NEXT) | instid1(VALU_DEP_4)
	v_cndmask_b32_e32 v16, v34, v32, vcc_lo
	v_cndmask_b32_e32 v30, v33, v31, vcc_lo
	v_cmp_ne_u32_e32 vcc_lo, 0, v15
	v_xor_b32_e32 v31, s14, v35
	s_delay_alu instid0(VALU_DEP_3) | instskip(NEXT) | instid1(VALU_DEP_1)
	v_dual_cndmask_b32 v4, v4, v30 :: v_dual_cndmask_b32 v15, v29, v16
                                        ; implicit-def: $vgpr29
	v_xor_b32_e32 v4, v4, v31
	s_delay_alu instid0(VALU_DEP_2) | instskip(NEXT) | instid1(VALU_DEP_2)
	v_xor_b32_e32 v16, v15, v31
	v_sub_co_u32 v15, vcc_lo, v4, v31
	s_delay_alu instid0(VALU_DEP_2)
	v_sub_co_ci_u32_e32 v16, vcc_lo, v16, v31, vcc_lo
.LBB38_12:                              ;   in Loop: Header=BB38_10 Depth=2
	s_and_not1_saveexec_b32 s3, s22
	s_cbranch_execz .LBB38_14
; %bb.13:                               ;   in Loop: Header=BB38_10 Depth=2
	v_cvt_f32_u32_e32 v4, s10
	s_delay_alu instid0(VALU_DEP_1) | instskip(SKIP_2) | instid1(VALU_DEP_1)
	v_rcp_iflag_f32_e32 v4, v4
	s_waitcnt_depctr 0xfff
	v_mul_f32_e32 v4, 0x4f7ffffe, v4
	v_cvt_u32_f32_e32 v4, v4
	s_delay_alu instid0(VALU_DEP_1) | instskip(NEXT) | instid1(VALU_DEP_1)
	v_mul_lo_u32 v15, s19, v4
	v_mul_hi_u32 v15, v4, v15
	s_delay_alu instid0(VALU_DEP_1) | instskip(NEXT) | instid1(VALU_DEP_1)
	v_add_nc_u32_e32 v4, v4, v15
	v_mul_hi_u32 v4, v29, v4
	s_delay_alu instid0(VALU_DEP_1) | instskip(SKIP_1) | instid1(VALU_DEP_2)
	v_mul_lo_u32 v15, v4, s10
	v_add_nc_u32_e32 v16, 1, v4
	v_sub_nc_u32_e32 v15, v29, v15
	s_delay_alu instid0(VALU_DEP_1) | instskip(SKIP_1) | instid1(VALU_DEP_2)
	v_subrev_nc_u32_e32 v29, s10, v15
	v_cmp_le_u32_e32 vcc_lo, s10, v15
	v_dual_cndmask_b32 v15, v15, v29 :: v_dual_cndmask_b32 v4, v4, v16
	s_delay_alu instid0(VALU_DEP_1) | instskip(NEXT) | instid1(VALU_DEP_2)
	v_cmp_le_u32_e32 vcc_lo, s10, v15
	v_add_nc_u32_e32 v16, 1, v4
	s_delay_alu instid0(VALU_DEP_1)
	v_dual_cndmask_b32 v15, v4, v16 :: v_dual_mov_b32 v16, v3
.LBB38_14:                              ;   in Loop: Header=BB38_10 Depth=2
	s_or_b32 exec_lo, exec_lo, s3
	s_delay_alu instid0(VALU_DEP_1)
	v_cmp_eq_u64_e32 vcc_lo, v[15:16], v[7:8]
	s_mov_b32 s15, exec_lo
	v_cmpx_ne_u64_e64 v[15:16], v[7:8]
	s_xor_b32 s15, exec_lo, s15
; %bb.15:                               ;   in Loop: Header=BB38_10 Depth=2
	v_cmp_lt_i64_e64 s3, v[15:16], v[5:6]
                                        ; implicit-def: $vgpr13_vgpr14
	s_delay_alu instid0(VALU_DEP_1)
	v_cndmask_b32_e64 v6, v6, v16, s3
	v_cndmask_b32_e64 v5, v5, v15, s3
; %bb.16:                               ;   in Loop: Header=BB38_10 Depth=2
	s_or_saveexec_b32 s3, s15
	v_dual_mov_b32 v16, v10 :: v_dual_mov_b32 v15, v9
	s_xor_b32 exec_lo, exec_lo, s3
	s_cbranch_execz .LBB38_9
; %bb.17:                               ;   in Loop: Header=BB38_10 Depth=2
	v_dual_mov_b32 v16, v14 :: v_dual_mov_b32 v15, v13
	ds_store_b8 v17, v28 offset:32
	s_branch .LBB38_9
.LBB38_18:                              ;   in Loop: Header=BB38_7 Depth=1
	s_or_b32 exec_lo, exec_lo, s21
.LBB38_19:                              ;   in Loop: Header=BB38_7 Depth=1
	s_delay_alu instid0(SALU_CYCLE_1)
	s_or_b32 exec_lo, exec_lo, s20
	ds_bpermute_b32 v7, v20, v15
	ds_bpermute_b32 v8, v20, v16
	s_waitcnt lgkmcnt(0)
	buffer_gl0_inv
	ds_load_u8 v4, v17 offset:32
	v_cmp_lt_i64_e32 vcc_lo, v[7:8], v[15:16]
	s_waitcnt lgkmcnt(0)
	v_and_b32_e32 v4, 1, v4
	v_dual_cndmask_b32 v8, v16, v8 :: v_dual_cndmask_b32 v7, v15, v7
	ds_bpermute_b32 v10, v21, v8
	ds_bpermute_b32 v9, v21, v7
	s_waitcnt lgkmcnt(0)
	v_cmp_lt_i64_e32 vcc_lo, v[9:10], v[7:8]
	v_dual_cndmask_b32 v8, v8, v10 :: v_dual_cndmask_b32 v7, v7, v9
	v_cmp_eq_u32_e32 vcc_lo, 1, v4
	ds_bpermute_b32 v10, v22, v8
	ds_bpermute_b32 v9, v22, v7
	s_and_b32 s15, s2, vcc_lo
	s_delay_alu instid0(SALU_CYCLE_1)
	s_and_saveexec_b32 s3, s15
	s_cbranch_execz .LBB38_6
; %bb.20:                               ;   in Loop: Header=BB38_7 Depth=1
	ds_load_b64 v[7:8], v18
	s_waitcnt lgkmcnt(0)
	v_add_co_u32 v7, vcc_lo, v7, 1
	v_add_co_ci_u32_e32 v8, vcc_lo, 0, v8, vcc_lo
	ds_store_b64 v18, v[7:8]
	s_branch .LBB38_6
.LBB38_21:
	s_or_b32 exec_lo, exec_lo, s18
.LBB38_22:
	s_delay_alu instid0(SALU_CYCLE_1)
	s_mov_b32 s2, exec_lo
	v_cmpx_eq_u32_e32 0, v19
	s_cbranch_execz .LBB38_25
; %bb.23:
	s_clause 0x1
	s_load_b32 s2, s[0:1], 0x40
	s_load_b64 s[0:1], s[0:1], 0x48
	s_waitcnt lgkmcnt(0)
	v_dual_mov_b32 v1, 0 :: v_dual_mov_b32 v0, s2
	global_store_b64 v1, v[0:1], s[0:1]
	v_lshl_or_b32 v0, s8, 2, v17
	s_delay_alu instid0(VALU_DEP_1)
	v_cmp_gt_i64_e32 vcc_lo, s[4:5], v[0:1]
	s_and_b32 exec_lo, exec_lo, vcc_lo
	s_cbranch_execz .LBB38_25
; %bb.24:
	ds_load_b64 v[2:3], v18
	v_add_nc_u32_e32 v0, 1, v0
	s_delay_alu instid0(VALU_DEP_1) | instskip(NEXT) | instid1(VALU_DEP_1)
	v_lshlrev_b64 v[0:1], 3, v[0:1]
	v_add_co_u32 v0, vcc_lo, s0, v0
	s_delay_alu instid0(VALU_DEP_2)
	v_add_co_ci_u32_e32 v1, vcc_lo, s1, v1, vcc_lo
	s_waitcnt lgkmcnt(0)
	global_store_b64 v[0:1], v[2:3], off
.LBB38_25:
	s_nop 0
	s_sendmsg sendmsg(MSG_DEALLOC_VGPRS)
	s_endpgm
	.section	.rodata,"a",@progbits
	.p2align	6, 0x0
	.amdhsa_kernel _ZN9rocsparseL46csr2bsr_nnz_wavefront_per_row_multipass_kernelILj256ELj64ELj16EllEEvT3_S1_S1_S1_S1_21rocsparse_index_base_PKT2_PKS1_S2_PS3_
		.amdhsa_group_segment_fixed_size 40
		.amdhsa_private_segment_fixed_size 0
		.amdhsa_kernarg_size 80
		.amdhsa_user_sgpr_count 15
		.amdhsa_user_sgpr_dispatch_ptr 0
		.amdhsa_user_sgpr_queue_ptr 0
		.amdhsa_user_sgpr_kernarg_segment_ptr 1
		.amdhsa_user_sgpr_dispatch_id 0
		.amdhsa_user_sgpr_private_segment_size 0
		.amdhsa_wavefront_size32 1
		.amdhsa_uses_dynamic_stack 0
		.amdhsa_enable_private_segment 0
		.amdhsa_system_sgpr_workgroup_id_x 1
		.amdhsa_system_sgpr_workgroup_id_y 0
		.amdhsa_system_sgpr_workgroup_id_z 0
		.amdhsa_system_sgpr_workgroup_info 0
		.amdhsa_system_vgpr_workitem_id 0
		.amdhsa_next_free_vgpr 38
		.amdhsa_next_free_sgpr 23
		.amdhsa_reserve_vcc 1
		.amdhsa_float_round_mode_32 0
		.amdhsa_float_round_mode_16_64 0
		.amdhsa_float_denorm_mode_32 3
		.amdhsa_float_denorm_mode_16_64 3
		.amdhsa_dx10_clamp 1
		.amdhsa_ieee_mode 1
		.amdhsa_fp16_overflow 0
		.amdhsa_workgroup_processor_mode 1
		.amdhsa_memory_ordered 1
		.amdhsa_forward_progress 0
		.amdhsa_shared_vgpr_count 0
		.amdhsa_exception_fp_ieee_invalid_op 0
		.amdhsa_exception_fp_denorm_src 0
		.amdhsa_exception_fp_ieee_div_zero 0
		.amdhsa_exception_fp_ieee_overflow 0
		.amdhsa_exception_fp_ieee_underflow 0
		.amdhsa_exception_fp_ieee_inexact 0
		.amdhsa_exception_int_div_zero 0
	.end_amdhsa_kernel
	.section	.text._ZN9rocsparseL46csr2bsr_nnz_wavefront_per_row_multipass_kernelILj256ELj64ELj16EllEEvT3_S1_S1_S1_S1_21rocsparse_index_base_PKT2_PKS1_S2_PS3_,"axG",@progbits,_ZN9rocsparseL46csr2bsr_nnz_wavefront_per_row_multipass_kernelILj256ELj64ELj16EllEEvT3_S1_S1_S1_S1_21rocsparse_index_base_PKT2_PKS1_S2_PS3_,comdat
.Lfunc_end38:
	.size	_ZN9rocsparseL46csr2bsr_nnz_wavefront_per_row_multipass_kernelILj256ELj64ELj16EllEEvT3_S1_S1_S1_S1_21rocsparse_index_base_PKT2_PKS1_S2_PS3_, .Lfunc_end38-_ZN9rocsparseL46csr2bsr_nnz_wavefront_per_row_multipass_kernelILj256ELj64ELj16EllEEvT3_S1_S1_S1_S1_21rocsparse_index_base_PKT2_PKS1_S2_PS3_
                                        ; -- End function
	.section	.AMDGPU.csdata,"",@progbits
; Kernel info:
; codeLenInByte = 2372
; NumSgprs: 25
; NumVgprs: 38
; ScratchSize: 0
; MemoryBound: 0
; FloatMode: 240
; IeeeMode: 1
; LDSByteSize: 40 bytes/workgroup (compile time only)
; SGPRBlocks: 3
; VGPRBlocks: 4
; NumSGPRsForWavesPerEU: 25
; NumVGPRsForWavesPerEU: 38
; Occupancy: 16
; WaveLimiterHint : 0
; COMPUTE_PGM_RSRC2:SCRATCH_EN: 0
; COMPUTE_PGM_RSRC2:USER_SGPR: 15
; COMPUTE_PGM_RSRC2:TRAP_HANDLER: 0
; COMPUTE_PGM_RSRC2:TGID_X_EN: 1
; COMPUTE_PGM_RSRC2:TGID_Y_EN: 0
; COMPUTE_PGM_RSRC2:TGID_Z_EN: 0
; COMPUTE_PGM_RSRC2:TIDIG_COMP_CNT: 0
	.section	.text._ZN9rocsparseL46csr2bsr_nnz_wavefront_per_row_multipass_kernelILj256ELj32ELj16EllEEvT3_S1_S1_S1_S1_21rocsparse_index_base_PKT2_PKS1_S2_PS3_,"axG",@progbits,_ZN9rocsparseL46csr2bsr_nnz_wavefront_per_row_multipass_kernelILj256ELj32ELj16EllEEvT3_S1_S1_S1_S1_21rocsparse_index_base_PKT2_PKS1_S2_PS3_,comdat
	.globl	_ZN9rocsparseL46csr2bsr_nnz_wavefront_per_row_multipass_kernelILj256ELj32ELj16EllEEvT3_S1_S1_S1_S1_21rocsparse_index_base_PKT2_PKS1_S2_PS3_ ; -- Begin function _ZN9rocsparseL46csr2bsr_nnz_wavefront_per_row_multipass_kernelILj256ELj32ELj16EllEEvT3_S1_S1_S1_S1_21rocsparse_index_base_PKT2_PKS1_S2_PS3_
	.p2align	8
	.type	_ZN9rocsparseL46csr2bsr_nnz_wavefront_per_row_multipass_kernelILj256ELj32ELj16EllEEvT3_S1_S1_S1_S1_21rocsparse_index_base_PKT2_PKS1_S2_PS3_,@function
_ZN9rocsparseL46csr2bsr_nnz_wavefront_per_row_multipass_kernelILj256ELj32ELj16EllEEvT3_S1_S1_S1_S1_21rocsparse_index_base_PKT2_PKS1_S2_PS3_: ; @_ZN9rocsparseL46csr2bsr_nnz_wavefront_per_row_multipass_kernelILj256ELj32ELj16EllEEvT3_S1_S1_S1_S1_21rocsparse_index_base_PKT2_PKS1_S2_PS3_
; %bb.0:
	s_load_b64 s[10:11], s[0:1], 0x20
	v_lshrrev_b32_e32 v17, 5, v0
	s_mov_b32 s8, s15
	s_ashr_i32 s9, s15, 31
	s_clause 0x1
	s_load_b64 s[14:15], s[0:1], 0x0
	s_load_b128 s[4:7], s[0:1], 0x10
	s_lshl_b64 s[2:3], s[8:9], 3
	v_mov_b32_e32 v6, 0
	v_or_b32_e32 v1, s2, v17
	v_bfe_u32 v5, v0, 1, 4
	s_clause 0x1
	s_load_b32 s9, s[0:1], 0x28
	s_load_b64 s[12:13], s[0:1], 0x30
	v_lshlrev_b32_e32 v18, 3, v17
	s_waitcnt lgkmcnt(0)
	v_mul_lo_u32 v7, v1, s11
	v_mad_u64_u32 v[3:4], null, v1, s10, v[5:6]
	v_mov_b32_e32 v1, 0
	s_mul_i32 s2, s3, s10
	v_mov_b32_e32 v2, 0
	s_delay_alu instid0(VALU_DEP_3) | instskip(SKIP_2) | instid1(VALU_DEP_4)
	v_add3_u32 v4, s2, v4, v7
	v_mov_b32_e32 v7, v6
	v_cmp_gt_i64_e64 s2, s[10:11], v[5:6]
	v_mov_b32_e32 v10, v2
	v_dual_mov_b32 v8, v6 :: v_dual_mov_b32 v9, v1
	v_cmp_gt_i64_e32 vcc_lo, s[14:15], v[3:4]
	ds_store_b64 v18, v[7:8]
	s_waitcnt lgkmcnt(0)
	s_barrier
	s_and_b32 s2, s2, vcc_lo
	buffer_gl0_inv
	s_and_saveexec_b32 s3, s2
	s_cbranch_execz .LBB39_2
; %bb.1:
	v_lshlrev_b64 v[5:6], 3, v[3:4]
	s_delay_alu instid0(VALU_DEP_1) | instskip(NEXT) | instid1(VALU_DEP_2)
	v_add_co_u32 v5, vcc_lo, s12, v5
	v_add_co_ci_u32_e32 v6, vcc_lo, s13, v6, vcc_lo
	global_load_b64 v[5:6], v[5:6], off
	s_waitcnt vmcnt(0)
	v_sub_co_u32 v9, vcc_lo, v5, s9
	v_subrev_co_ci_u32_e32 v10, vcc_lo, 0, v6, vcc_lo
.LBB39_2:
	s_or_b32 exec_lo, exec_lo, s3
	s_and_saveexec_b32 s3, s2
	s_cbranch_execz .LBB39_4
; %bb.3:
	v_lshlrev_b64 v[1:2], 3, v[3:4]
	s_delay_alu instid0(VALU_DEP_1) | instskip(NEXT) | instid1(VALU_DEP_2)
	v_add_co_u32 v1, vcc_lo, s12, v1
	v_add_co_ci_u32_e32 v2, vcc_lo, s13, v2, vcc_lo
	global_load_b64 v[1:2], v[1:2], off offset:8
	s_waitcnt vmcnt(0)
	v_sub_co_u32 v1, vcc_lo, v1, s9
	v_subrev_co_ci_u32_e32 v2, vcc_lo, 0, v2, vcc_lo
.LBB39_4:
	s_or_b32 exec_lo, exec_lo, s3
	v_cmp_lt_i64_e64 s2, s[6:7], 1
	v_and_b32_e32 v19, 31, v0
	s_delay_alu instid0(VALU_DEP_2) | instskip(NEXT) | instid1(VALU_DEP_1)
	s_and_b32 vcc_lo, exec_lo, s2
	v_cmp_eq_u32_e64 s2, 0, v19
	s_cbranch_vccnz .LBB39_22
; %bb.5:
	v_mbcnt_lo_u32_b32 v4, -1, 0
	s_load_b64 s[12:13], s[0:1], 0x38
	v_dual_mov_b32 v3, 0 :: v_dual_and_b32 v0, 1, v0
	s_mov_b32 s18, 0
	s_delay_alu instid0(VALU_DEP_2)
	v_xor_b32_e32 v5, 1, v4
	v_xor_b32_e32 v6, 16, v4
	;; [unrolled: 1-line block ×5, first 2 shown]
	v_cmp_gt_i32_e32 vcc_lo, 32, v5
	v_lshl_or_b32 v21, v4, 2, 4
	s_ashr_i32 s14, s11, 31
	s_sub_i32 s19, 0, s10
	v_dual_mov_b32 v26, 0x7c :: v_dual_cndmask_b32 v5, v4, v5
	v_cmp_gt_i32_e32 vcc_lo, 32, v6
	v_dual_mov_b32 v27, 1 :: v_dual_cndmask_b32 v6, v4, v6
	v_cmp_gt_i32_e32 vcc_lo, 32, v7
	v_cndmask_b32_e32 v7, v4, v7, vcc_lo
	v_cmp_gt_i32_e32 vcc_lo, 32, v8
	s_delay_alu instid0(VALU_DEP_2) | instskip(SKIP_3) | instid1(VALU_DEP_2)
	v_lshlrev_b32_e32 v23, 2, v7
	v_lshlrev_b32_e32 v22, 2, v6
	v_dual_cndmask_b32 v5, v4, v8 :: v_dual_lshlrev_b32 v20, 2, v5
	v_cmp_gt_i32_e32 vcc_lo, 32, v11
	v_lshlrev_b32_e32 v24, 2, v5
	v_cndmask_b32_e32 v8, v4, v11, vcc_lo
	s_delay_alu instid0(VALU_DEP_1)
	v_lshlrev_b32_e32 v25, 2, v8
	v_mov_b32_e32 v7, 0
	v_mov_b32_e32 v8, 0
	s_branch .LBB39_7
.LBB39_6:                               ;   in Loop: Header=BB39_7 Depth=1
	s_or_b32 exec_lo, exec_lo, s3
	ds_bpermute_b32 v7, v22, v5
	ds_bpermute_b32 v8, v22, v6
	s_waitcnt lgkmcnt(0)
	buffer_gl0_inv
	v_cmp_lt_i64_e32 vcc_lo, v[7:8], v[5:6]
	v_dual_cndmask_b32 v6, v6, v8 :: v_dual_cndmask_b32 v5, v5, v7
	ds_bpermute_b32 v8, v23, v6
	ds_bpermute_b32 v7, v23, v5
	s_waitcnt lgkmcnt(0)
	v_cmp_lt_i64_e32 vcc_lo, v[7:8], v[5:6]
	v_dual_cndmask_b32 v6, v6, v8 :: v_dual_cndmask_b32 v5, v5, v7
	ds_bpermute_b32 v8, v24, v6
	ds_bpermute_b32 v7, v24, v5
	s_waitcnt lgkmcnt(0)
	;; [unrolled: 5-line block ×5, first 2 shown]
	v_cmp_le_i64_e32 vcc_lo, s[6:7], v[7:8]
	s_or_b32 s18, vcc_lo, s18
	s_delay_alu instid0(SALU_CYCLE_1)
	s_and_not1_b32 exec_lo, exec_lo, s18
	s_cbranch_execz .LBB39_21
.LBB39_7:                               ; =>This Loop Header: Depth=1
                                        ;     Child Loop BB39_10 Depth 2
	v_add_co_u32 v9, vcc_lo, v9, v0
	v_add_co_ci_u32_e32 v10, vcc_lo, 0, v10, vcc_lo
	v_dual_mov_b32 v5, s6 :: v_dual_mov_b32 v6, s7
	v_dual_mov_b32 v16, v2 :: v_dual_mov_b32 v15, v1
	s_mov_b32 s20, exec_lo
	ds_store_b8 v17, v3 offset:64
	s_waitcnt lgkmcnt(0)
	buffer_gl0_inv
	v_cmpx_lt_i64_e64 v[9:10], v[1:2]
	s_cbranch_execz .LBB39_19
; %bb.8:                                ;   in Loop: Header=BB39_7 Depth=1
	v_lshlrev_b64 v[11:12], 3, v[9:10]
	v_dual_mov_b32 v5, s6 :: v_dual_mov_b32 v6, s7
	v_dual_mov_b32 v14, v2 :: v_dual_mov_b32 v13, v1
	s_mov_b32 s21, 0
	s_delay_alu instid0(VALU_DEP_3) | instskip(NEXT) | instid1(VALU_DEP_4)
	v_add_co_u32 v11, vcc_lo, s12, v11
	v_add_co_ci_u32_e32 v12, vcc_lo, s13, v12, vcc_lo
	s_branch .LBB39_10
.LBB39_9:                               ;   in Loop: Header=BB39_10 Depth=2
	s_or_b32 exec_lo, exec_lo, s3
	v_add_co_u32 v9, s3, v9, 2
	s_delay_alu instid0(VALU_DEP_1) | instskip(SKIP_2) | instid1(VALU_DEP_2)
	v_add_co_ci_u32_e64 v10, s3, 0, v10, s3
	s_xor_b32 s15, vcc_lo, -1
	v_add_co_u32 v11, vcc_lo, v11, 16
	v_cmp_ge_i64_e64 s3, v[9:10], v[1:2]
	v_add_co_ci_u32_e32 v12, vcc_lo, 0, v12, vcc_lo
	v_dual_mov_b32 v13, v15 :: v_dual_mov_b32 v14, v16
	s_delay_alu instid0(VALU_DEP_3) | instskip(NEXT) | instid1(SALU_CYCLE_1)
	s_or_b32 s3, s15, s3
	s_and_b32 s3, exec_lo, s3
	s_delay_alu instid0(SALU_CYCLE_1) | instskip(NEXT) | instid1(SALU_CYCLE_1)
	s_or_b32 s21, s3, s21
	s_and_not1_b32 exec_lo, exec_lo, s21
	s_cbranch_execz .LBB39_18
.LBB39_10:                              ;   Parent Loop BB39_7 Depth=1
                                        ; =>  This Inner Loop Header: Depth=2
	global_load_b64 v[15:16], v[11:12], off
	s_mov_b32 s3, exec_lo
	s_waitcnt vmcnt(0)
	v_sub_co_u32 v28, vcc_lo, v15, s9
	v_subrev_co_ci_u32_e32 v29, vcc_lo, 0, v16, vcc_lo
                                        ; implicit-def: $vgpr15_vgpr16
	s_delay_alu instid0(VALU_DEP_1) | instskip(NEXT) | instid1(VALU_DEP_1)
	v_or_b32_e32 v4, s11, v29
	v_cmpx_ne_u64_e32 0, v[3:4]
	s_xor_b32 s22, exec_lo, s3
	s_cbranch_execz .LBB39_12
; %bb.11:                               ;   in Loop: Header=BB39_10 Depth=2
	s_add_u32 s16, s10, s14
	s_mov_b32 s15, s14
	s_addc_u32 s17, s11, s14
	s_delay_alu instid0(SALU_CYCLE_1) | instskip(NEXT) | instid1(SALU_CYCLE_1)
	s_xor_b64 s[16:17], s[16:17], s[14:15]
	v_cvt_f32_u32_e32 v4, s16
	v_cvt_f32_u32_e32 v15, s17
	s_sub_u32 s3, 0, s16
	s_subb_u32 s15, 0, s17
	s_delay_alu instid0(VALU_DEP_1) | instskip(NEXT) | instid1(VALU_DEP_1)
	v_fmac_f32_e32 v4, 0x4f800000, v15
	v_rcp_f32_e32 v4, v4
	s_waitcnt_depctr 0xfff
	v_mul_f32_e32 v4, 0x5f7ffffc, v4
	s_delay_alu instid0(VALU_DEP_1) | instskip(NEXT) | instid1(VALU_DEP_1)
	v_mul_f32_e32 v15, 0x2f800000, v4
	v_trunc_f32_e32 v15, v15
	s_delay_alu instid0(VALU_DEP_1) | instskip(SKIP_1) | instid1(VALU_DEP_2)
	v_fmac_f32_e32 v4, 0xcf800000, v15
	v_cvt_u32_f32_e32 v15, v15
	v_cvt_u32_f32_e32 v4, v4
	s_delay_alu instid0(VALU_DEP_2) | instskip(NEXT) | instid1(VALU_DEP_2)
	v_mul_lo_u32 v16, s3, v15
	v_mul_hi_u32 v30, s3, v4
	v_mul_lo_u32 v31, s15, v4
	s_delay_alu instid0(VALU_DEP_2) | instskip(SKIP_1) | instid1(VALU_DEP_2)
	v_add_nc_u32_e32 v16, v30, v16
	v_mul_lo_u32 v30, s3, v4
	v_add_nc_u32_e32 v16, v16, v31
	s_delay_alu instid0(VALU_DEP_2) | instskip(NEXT) | instid1(VALU_DEP_2)
	v_mul_hi_u32 v31, v4, v30
	v_mul_lo_u32 v32, v4, v16
	v_mul_hi_u32 v33, v4, v16
	v_mul_hi_u32 v34, v15, v30
	v_mul_lo_u32 v30, v15, v30
	v_mul_hi_u32 v35, v15, v16
	v_mul_lo_u32 v16, v15, v16
	v_add_co_u32 v31, vcc_lo, v31, v32
	v_add_co_ci_u32_e32 v32, vcc_lo, 0, v33, vcc_lo
	s_delay_alu instid0(VALU_DEP_2) | instskip(NEXT) | instid1(VALU_DEP_2)
	v_add_co_u32 v30, vcc_lo, v31, v30
	v_add_co_ci_u32_e32 v30, vcc_lo, v32, v34, vcc_lo
	v_add_co_ci_u32_e32 v31, vcc_lo, 0, v35, vcc_lo
	v_ashrrev_i32_e32 v34, 31, v29
	s_delay_alu instid0(VALU_DEP_3) | instskip(NEXT) | instid1(VALU_DEP_3)
	v_add_co_u32 v16, vcc_lo, v30, v16
	v_add_co_ci_u32_e32 v30, vcc_lo, 0, v31, vcc_lo
	s_delay_alu instid0(VALU_DEP_2) | instskip(NEXT) | instid1(VALU_DEP_2)
	v_add_co_u32 v4, vcc_lo, v4, v16
	v_add_co_ci_u32_e32 v15, vcc_lo, v15, v30, vcc_lo
	s_delay_alu instid0(VALU_DEP_2) | instskip(SKIP_1) | instid1(VALU_DEP_3)
	v_mul_hi_u32 v16, s3, v4
	v_mul_lo_u32 v31, s15, v4
	v_mul_lo_u32 v30, s3, v15
	s_delay_alu instid0(VALU_DEP_1) | instskip(SKIP_1) | instid1(VALU_DEP_2)
	v_add_nc_u32_e32 v16, v16, v30
	v_mul_lo_u32 v30, s3, v4
	v_add_nc_u32_e32 v16, v16, v31
	s_delay_alu instid0(VALU_DEP_2) | instskip(NEXT) | instid1(VALU_DEP_2)
	v_mul_hi_u32 v31, v4, v30
	v_mul_lo_u32 v32, v4, v16
	v_mul_hi_u32 v33, v4, v16
	v_mul_hi_u32 v35, v15, v30
	v_mul_lo_u32 v30, v15, v30
	v_mul_hi_u32 v36, v15, v16
	v_mul_lo_u32 v16, v15, v16
	v_add_co_u32 v31, vcc_lo, v31, v32
	v_add_co_ci_u32_e32 v32, vcc_lo, 0, v33, vcc_lo
	s_delay_alu instid0(VALU_DEP_2) | instskip(NEXT) | instid1(VALU_DEP_2)
	v_add_co_u32 v30, vcc_lo, v31, v30
	v_add_co_ci_u32_e32 v30, vcc_lo, v32, v35, vcc_lo
	v_add_co_ci_u32_e32 v31, vcc_lo, 0, v36, vcc_lo
	v_add_co_u32 v28, vcc_lo, v28, v34
	v_add_co_ci_u32_e32 v29, vcc_lo, v29, v34, vcc_lo
	s_delay_alu instid0(VALU_DEP_4) | instskip(NEXT) | instid1(VALU_DEP_4)
	v_add_co_u32 v16, vcc_lo, v30, v16
	v_add_co_ci_u32_e32 v30, vcc_lo, 0, v31, vcc_lo
	s_delay_alu instid0(VALU_DEP_4) | instskip(NEXT) | instid1(VALU_DEP_3)
	v_xor_b32_e32 v32, v28, v34
	v_add_co_u32 v4, vcc_lo, v4, v16
	s_delay_alu instid0(VALU_DEP_3) | instskip(SKIP_1) | instid1(VALU_DEP_3)
	v_add_co_ci_u32_e32 v33, vcc_lo, v15, v30, vcc_lo
	v_xor_b32_e32 v35, v29, v34
	v_mul_hi_u32 v36, v32, v4
	s_delay_alu instid0(VALU_DEP_3) | instskip(NEXT) | instid1(VALU_DEP_3)
	v_mad_u64_u32 v[15:16], null, v32, v33, 0
	v_mad_u64_u32 v[28:29], null, v35, v4, 0
	v_mad_u64_u32 v[30:31], null, v35, v33, 0
	s_delay_alu instid0(VALU_DEP_3) | instskip(NEXT) | instid1(VALU_DEP_4)
	v_add_co_u32 v4, vcc_lo, v36, v15
	v_add_co_ci_u32_e32 v15, vcc_lo, 0, v16, vcc_lo
	s_delay_alu instid0(VALU_DEP_2) | instskip(NEXT) | instid1(VALU_DEP_2)
	v_add_co_u32 v4, vcc_lo, v4, v28
	v_add_co_ci_u32_e32 v4, vcc_lo, v15, v29, vcc_lo
	v_add_co_ci_u32_e32 v15, vcc_lo, 0, v31, vcc_lo
	s_delay_alu instid0(VALU_DEP_2) | instskip(NEXT) | instid1(VALU_DEP_2)
	v_add_co_u32 v4, vcc_lo, v4, v30
	v_add_co_ci_u32_e32 v28, vcc_lo, 0, v15, vcc_lo
	s_delay_alu instid0(VALU_DEP_2) | instskip(SKIP_1) | instid1(VALU_DEP_3)
	v_mul_lo_u32 v29, s17, v4
	v_mad_u64_u32 v[15:16], null, s16, v4, 0
	v_mul_lo_u32 v30, s16, v28
	s_delay_alu instid0(VALU_DEP_2) | instskip(NEXT) | instid1(VALU_DEP_2)
	v_sub_co_u32 v15, vcc_lo, v32, v15
	v_add3_u32 v16, v16, v30, v29
	s_delay_alu instid0(VALU_DEP_1) | instskip(NEXT) | instid1(VALU_DEP_1)
	v_sub_nc_u32_e32 v29, v35, v16
	v_subrev_co_ci_u32_e64 v29, s3, s17, v29, vcc_lo
	v_add_co_u32 v30, s3, v4, 2
	s_delay_alu instid0(VALU_DEP_1) | instskip(SKIP_3) | instid1(VALU_DEP_3)
	v_add_co_ci_u32_e64 v31, s3, 0, v28, s3
	v_sub_co_u32 v32, s3, v15, s16
	v_sub_co_ci_u32_e32 v16, vcc_lo, v35, v16, vcc_lo
	v_subrev_co_ci_u32_e64 v29, s3, 0, v29, s3
	v_cmp_le_u32_e32 vcc_lo, s16, v32
	s_delay_alu instid0(VALU_DEP_3) | instskip(SKIP_1) | instid1(VALU_DEP_4)
	v_cmp_eq_u32_e64 s3, s17, v16
	v_cndmask_b32_e64 v32, 0, -1, vcc_lo
	v_cmp_le_u32_e32 vcc_lo, s17, v29
	v_cndmask_b32_e64 v33, 0, -1, vcc_lo
	v_cmp_le_u32_e32 vcc_lo, s16, v15
	;; [unrolled: 2-line block ×3, first 2 shown]
	v_cndmask_b32_e64 v35, 0, -1, vcc_lo
	v_cmp_eq_u32_e32 vcc_lo, s17, v29
	s_delay_alu instid0(VALU_DEP_2) | instskip(SKIP_3) | instid1(VALU_DEP_3)
	v_cndmask_b32_e64 v15, v35, v15, s3
	v_cndmask_b32_e32 v29, v33, v32, vcc_lo
	v_add_co_u32 v32, vcc_lo, v4, 1
	v_add_co_ci_u32_e32 v33, vcc_lo, 0, v28, vcc_lo
	v_cmp_ne_u32_e32 vcc_lo, 0, v29
	s_delay_alu instid0(VALU_DEP_2) | instskip(SKIP_2) | instid1(VALU_DEP_3)
	v_dual_cndmask_b32 v16, v33, v31 :: v_dual_cndmask_b32 v29, v32, v30
	v_cmp_ne_u32_e32 vcc_lo, 0, v15
	v_xor_b32_e32 v30, s14, v34
	v_cndmask_b32_e32 v15, v28, v16, vcc_lo
	s_delay_alu instid0(VALU_DEP_4) | instskip(NEXT) | instid1(VALU_DEP_2)
	v_cndmask_b32_e32 v4, v4, v29, vcc_lo
                                        ; implicit-def: $vgpr28
	v_xor_b32_e32 v16, v15, v30
	s_delay_alu instid0(VALU_DEP_2) | instskip(NEXT) | instid1(VALU_DEP_1)
	v_xor_b32_e32 v4, v4, v30
	v_sub_co_u32 v15, vcc_lo, v4, v30
	s_delay_alu instid0(VALU_DEP_3)
	v_sub_co_ci_u32_e32 v16, vcc_lo, v16, v30, vcc_lo
.LBB39_12:                              ;   in Loop: Header=BB39_10 Depth=2
	s_and_not1_saveexec_b32 s3, s22
	s_cbranch_execz .LBB39_14
; %bb.13:                               ;   in Loop: Header=BB39_10 Depth=2
	v_cvt_f32_u32_e32 v4, s10
	s_delay_alu instid0(VALU_DEP_1) | instskip(SKIP_2) | instid1(VALU_DEP_1)
	v_rcp_iflag_f32_e32 v4, v4
	s_waitcnt_depctr 0xfff
	v_mul_f32_e32 v4, 0x4f7ffffe, v4
	v_cvt_u32_f32_e32 v4, v4
	s_delay_alu instid0(VALU_DEP_1) | instskip(NEXT) | instid1(VALU_DEP_1)
	v_mul_lo_u32 v15, s19, v4
	v_mul_hi_u32 v15, v4, v15
	s_delay_alu instid0(VALU_DEP_1) | instskip(NEXT) | instid1(VALU_DEP_1)
	v_add_nc_u32_e32 v4, v4, v15
	v_mul_hi_u32 v4, v28, v4
	s_delay_alu instid0(VALU_DEP_1) | instskip(SKIP_1) | instid1(VALU_DEP_2)
	v_mul_lo_u32 v15, v4, s10
	v_add_nc_u32_e32 v16, 1, v4
	v_sub_nc_u32_e32 v15, v28, v15
	s_delay_alu instid0(VALU_DEP_1) | instskip(SKIP_1) | instid1(VALU_DEP_2)
	v_subrev_nc_u32_e32 v28, s10, v15
	v_cmp_le_u32_e32 vcc_lo, s10, v15
	v_cndmask_b32_e32 v15, v15, v28, vcc_lo
	v_cndmask_b32_e32 v4, v4, v16, vcc_lo
	s_delay_alu instid0(VALU_DEP_2) | instskip(NEXT) | instid1(VALU_DEP_2)
	v_cmp_le_u32_e32 vcc_lo, s10, v15
	v_add_nc_u32_e32 v16, 1, v4
	s_delay_alu instid0(VALU_DEP_1)
	v_dual_cndmask_b32 v15, v4, v16 :: v_dual_mov_b32 v16, v3
.LBB39_14:                              ;   in Loop: Header=BB39_10 Depth=2
	s_or_b32 exec_lo, exec_lo, s3
	s_delay_alu instid0(VALU_DEP_1)
	v_cmp_eq_u64_e32 vcc_lo, v[15:16], v[7:8]
	s_mov_b32 s15, exec_lo
	v_cmpx_ne_u64_e64 v[15:16], v[7:8]
	s_xor_b32 s15, exec_lo, s15
; %bb.15:                               ;   in Loop: Header=BB39_10 Depth=2
	v_cmp_lt_i64_e64 s3, v[15:16], v[5:6]
                                        ; implicit-def: $vgpr13_vgpr14
	s_delay_alu instid0(VALU_DEP_1)
	v_cndmask_b32_e64 v6, v6, v16, s3
	v_cndmask_b32_e64 v5, v5, v15, s3
; %bb.16:                               ;   in Loop: Header=BB39_10 Depth=2
	s_or_saveexec_b32 s3, s15
	v_dual_mov_b32 v16, v10 :: v_dual_mov_b32 v15, v9
	s_xor_b32 exec_lo, exec_lo, s3
	s_cbranch_execz .LBB39_9
; %bb.17:                               ;   in Loop: Header=BB39_10 Depth=2
	v_dual_mov_b32 v16, v14 :: v_dual_mov_b32 v15, v13
	ds_store_b8 v17, v27 offset:64
	s_branch .LBB39_9
.LBB39_18:                              ;   in Loop: Header=BB39_7 Depth=1
	s_or_b32 exec_lo, exec_lo, s21
.LBB39_19:                              ;   in Loop: Header=BB39_7 Depth=1
	s_delay_alu instid0(SALU_CYCLE_1)
	s_or_b32 exec_lo, exec_lo, s20
	ds_bpermute_b32 v7, v20, v15
	ds_bpermute_b32 v8, v20, v16
	s_waitcnt lgkmcnt(0)
	buffer_gl0_inv
	ds_load_u8 v4, v17 offset:64
	v_cmp_lt_i64_e32 vcc_lo, v[7:8], v[15:16]
	s_waitcnt lgkmcnt(0)
	v_and_b32_e32 v4, 1, v4
	v_dual_cndmask_b32 v8, v16, v8 :: v_dual_cndmask_b32 v7, v15, v7
	s_delay_alu instid0(VALU_DEP_2) | instskip(SKIP_3) | instid1(SALU_CYCLE_1)
	v_cmp_eq_u32_e32 vcc_lo, 1, v4
	ds_bpermute_b32 v10, v21, v8
	ds_bpermute_b32 v9, v21, v7
	s_and_b32 s15, s2, vcc_lo
	s_and_saveexec_b32 s3, s15
	s_cbranch_execz .LBB39_6
; %bb.20:                               ;   in Loop: Header=BB39_7 Depth=1
	ds_load_b64 v[7:8], v18
	s_waitcnt lgkmcnt(0)
	v_add_co_u32 v7, vcc_lo, v7, 1
	v_add_co_ci_u32_e32 v8, vcc_lo, 0, v8, vcc_lo
	ds_store_b64 v18, v[7:8]
	s_branch .LBB39_6
.LBB39_21:
	s_or_b32 exec_lo, exec_lo, s18
.LBB39_22:
	s_delay_alu instid0(SALU_CYCLE_1)
	s_mov_b32 s2, exec_lo
	v_cmpx_eq_u32_e32 0, v19
	s_cbranch_execz .LBB39_25
; %bb.23:
	s_clause 0x1
	s_load_b32 s2, s[0:1], 0x40
	s_load_b64 s[0:1], s[0:1], 0x48
	s_waitcnt lgkmcnt(0)
	v_dual_mov_b32 v1, 0 :: v_dual_mov_b32 v0, s2
	global_store_b64 v1, v[0:1], s[0:1]
	v_lshl_or_b32 v0, s8, 3, v17
	s_delay_alu instid0(VALU_DEP_1)
	v_cmp_gt_i64_e32 vcc_lo, s[4:5], v[0:1]
	s_and_b32 exec_lo, exec_lo, vcc_lo
	s_cbranch_execz .LBB39_25
; %bb.24:
	ds_load_b64 v[2:3], v18
	v_add_nc_u32_e32 v0, 1, v0
	s_delay_alu instid0(VALU_DEP_1) | instskip(NEXT) | instid1(VALU_DEP_1)
	v_lshlrev_b64 v[0:1], 3, v[0:1]
	v_add_co_u32 v0, vcc_lo, s0, v0
	s_delay_alu instid0(VALU_DEP_2)
	v_add_co_ci_u32_e32 v1, vcc_lo, s1, v1, vcc_lo
	s_waitcnt lgkmcnt(0)
	global_store_b64 v[0:1], v[2:3], off
.LBB39_25:
	s_nop 0
	s_sendmsg sendmsg(MSG_DEALLOC_VGPRS)
	s_endpgm
	.section	.rodata,"a",@progbits
	.p2align	6, 0x0
	.amdhsa_kernel _ZN9rocsparseL46csr2bsr_nnz_wavefront_per_row_multipass_kernelILj256ELj32ELj16EllEEvT3_S1_S1_S1_S1_21rocsparse_index_base_PKT2_PKS1_S2_PS3_
		.amdhsa_group_segment_fixed_size 72
		.amdhsa_private_segment_fixed_size 0
		.amdhsa_kernarg_size 80
		.amdhsa_user_sgpr_count 15
		.amdhsa_user_sgpr_dispatch_ptr 0
		.amdhsa_user_sgpr_queue_ptr 0
		.amdhsa_user_sgpr_kernarg_segment_ptr 1
		.amdhsa_user_sgpr_dispatch_id 0
		.amdhsa_user_sgpr_private_segment_size 0
		.amdhsa_wavefront_size32 1
		.amdhsa_uses_dynamic_stack 0
		.amdhsa_enable_private_segment 0
		.amdhsa_system_sgpr_workgroup_id_x 1
		.amdhsa_system_sgpr_workgroup_id_y 0
		.amdhsa_system_sgpr_workgroup_id_z 0
		.amdhsa_system_sgpr_workgroup_info 0
		.amdhsa_system_vgpr_workitem_id 0
		.amdhsa_next_free_vgpr 37
		.amdhsa_next_free_sgpr 23
		.amdhsa_reserve_vcc 1
		.amdhsa_float_round_mode_32 0
		.amdhsa_float_round_mode_16_64 0
		.amdhsa_float_denorm_mode_32 3
		.amdhsa_float_denorm_mode_16_64 3
		.amdhsa_dx10_clamp 1
		.amdhsa_ieee_mode 1
		.amdhsa_fp16_overflow 0
		.amdhsa_workgroup_processor_mode 1
		.amdhsa_memory_ordered 1
		.amdhsa_forward_progress 0
		.amdhsa_shared_vgpr_count 0
		.amdhsa_exception_fp_ieee_invalid_op 0
		.amdhsa_exception_fp_denorm_src 0
		.amdhsa_exception_fp_ieee_div_zero 0
		.amdhsa_exception_fp_ieee_overflow 0
		.amdhsa_exception_fp_ieee_underflow 0
		.amdhsa_exception_fp_ieee_inexact 0
		.amdhsa_exception_int_div_zero 0
	.end_amdhsa_kernel
	.section	.text._ZN9rocsparseL46csr2bsr_nnz_wavefront_per_row_multipass_kernelILj256ELj32ELj16EllEEvT3_S1_S1_S1_S1_21rocsparse_index_base_PKT2_PKS1_S2_PS3_,"axG",@progbits,_ZN9rocsparseL46csr2bsr_nnz_wavefront_per_row_multipass_kernelILj256ELj32ELj16EllEEvT3_S1_S1_S1_S1_21rocsparse_index_base_PKT2_PKS1_S2_PS3_,comdat
.Lfunc_end39:
	.size	_ZN9rocsparseL46csr2bsr_nnz_wavefront_per_row_multipass_kernelILj256ELj32ELj16EllEEvT3_S1_S1_S1_S1_21rocsparse_index_base_PKT2_PKS1_S2_PS3_, .Lfunc_end39-_ZN9rocsparseL46csr2bsr_nnz_wavefront_per_row_multipass_kernelILj256ELj32ELj16EllEEvT3_S1_S1_S1_S1_21rocsparse_index_base_PKT2_PKS1_S2_PS3_
                                        ; -- End function
	.section	.AMDGPU.csdata,"",@progbits
; Kernel info:
; codeLenInByte = 2292
; NumSgprs: 25
; NumVgprs: 37
; ScratchSize: 0
; MemoryBound: 0
; FloatMode: 240
; IeeeMode: 1
; LDSByteSize: 72 bytes/workgroup (compile time only)
; SGPRBlocks: 3
; VGPRBlocks: 4
; NumSGPRsForWavesPerEU: 25
; NumVGPRsForWavesPerEU: 37
; Occupancy: 16
; WaveLimiterHint : 0
; COMPUTE_PGM_RSRC2:SCRATCH_EN: 0
; COMPUTE_PGM_RSRC2:USER_SGPR: 15
; COMPUTE_PGM_RSRC2:TRAP_HANDLER: 0
; COMPUTE_PGM_RSRC2:TGID_X_EN: 1
; COMPUTE_PGM_RSRC2:TGID_Y_EN: 0
; COMPUTE_PGM_RSRC2:TGID_Z_EN: 0
; COMPUTE_PGM_RSRC2:TIDIG_COMP_CNT: 0
	.section	.text._ZN9rocsparseL42csr2bsr_nnz_block_per_row_multipass_kernelILj256ELj32EllEEvT2_S1_S1_S1_S1_21rocsparse_index_base_PKT1_PKS1_S2_PS3_,"axG",@progbits,_ZN9rocsparseL42csr2bsr_nnz_block_per_row_multipass_kernelILj256ELj32EllEEvT2_S1_S1_S1_S1_21rocsparse_index_base_PKT1_PKS1_S2_PS3_,comdat
	.globl	_ZN9rocsparseL42csr2bsr_nnz_block_per_row_multipass_kernelILj256ELj32EllEEvT2_S1_S1_S1_S1_21rocsparse_index_base_PKT1_PKS1_S2_PS3_ ; -- Begin function _ZN9rocsparseL42csr2bsr_nnz_block_per_row_multipass_kernelILj256ELj32EllEEvT2_S1_S1_S1_S1_21rocsparse_index_base_PKT1_PKS1_S2_PS3_
	.p2align	8
	.type	_ZN9rocsparseL42csr2bsr_nnz_block_per_row_multipass_kernelILj256ELj32EllEEvT2_S1_S1_S1_S1_21rocsparse_index_base_PKT1_PKS1_S2_PS3_,@function
_ZN9rocsparseL42csr2bsr_nnz_block_per_row_multipass_kernelILj256ELj32EllEEvT2_S1_S1_S1_S1_21rocsparse_index_base_PKT1_PKS1_S2_PS3_: ; @_ZN9rocsparseL42csr2bsr_nnz_block_per_row_multipass_kernelILj256ELj32EllEEvT2_S1_S1_S1_S1_21rocsparse_index_base_PKT1_PKS1_S2_PS3_
; %bb.0:
	s_mov_b32 s16, s15
	s_clause 0x1
	s_load_b128 s[12:15], s[0:1], 0x18
	s_load_b64 s[2:3], s[0:1], 0x0
	v_dual_mov_b32 v6, 0 :: v_dual_mov_b32 v1, 0
	v_lshrrev_b32_e32 v5, 3, v0
	s_clause 0x1
	s_load_b32 s11, s[0:1], 0x28
	s_load_b64 s[4:5], s[0:1], 0x30
	s_ashr_i32 s17, s16, 31
	v_dual_mov_b32 v2, 0 :: v_dual_mov_b32 v7, v6
	v_mov_b32_e32 v8, v6
	s_delay_alu instid0(VALU_DEP_2)
	v_dual_mov_b32 v10, v2 :: v_dual_mov_b32 v9, v1
	ds_store_b64 v6, v[7:8] offset:2048
	s_waitcnt lgkmcnt(0)
	s_barrier
	buffer_gl0_inv
	v_mad_u64_u32 v[3:4], null, s16, s14, v[5:6]
	s_mul_i32 s6, s16, s15
	s_mul_i32 s7, s17, s14
	s_delay_alu instid0(VALU_DEP_1) | instid1(SALU_CYCLE_1)
	v_add3_u32 v4, s6, s7, v4
	s_delay_alu instid0(VALU_DEP_1) | instskip(SKIP_1) | instid1(VALU_DEP_1)
	v_cmp_gt_i64_e32 vcc_lo, s[2:3], v[3:4]
	v_cmp_gt_i64_e64 s2, s[14:15], v[5:6]
	s_and_b32 s2, s2, vcc_lo
	s_delay_alu instid0(SALU_CYCLE_1)
	s_and_saveexec_b32 s3, s2
	s_cbranch_execz .LBB40_2
; %bb.1:
	v_lshlrev_b64 v[5:6], 3, v[3:4]
	s_delay_alu instid0(VALU_DEP_1) | instskip(NEXT) | instid1(VALU_DEP_2)
	v_add_co_u32 v5, vcc_lo, s4, v5
	v_add_co_ci_u32_e32 v6, vcc_lo, s5, v6, vcc_lo
	global_load_b64 v[5:6], v[5:6], off
	s_waitcnt vmcnt(0)
	v_sub_co_u32 v9, vcc_lo, v5, s11
	v_subrev_co_ci_u32_e32 v10, vcc_lo, 0, v6, vcc_lo
.LBB40_2:
	s_or_b32 exec_lo, exec_lo, s3
	s_and_saveexec_b32 s3, s2
	s_cbranch_execz .LBB40_4
; %bb.3:
	v_lshlrev_b64 v[1:2], 3, v[3:4]
	s_delay_alu instid0(VALU_DEP_1) | instskip(NEXT) | instid1(VALU_DEP_2)
	v_add_co_u32 v1, vcc_lo, s4, v1
	v_add_co_ci_u32_e32 v2, vcc_lo, s5, v2, vcc_lo
	global_load_b64 v[1:2], v[1:2], off offset:8
	s_waitcnt vmcnt(0)
	v_sub_co_u32 v1, vcc_lo, v1, s11
	v_subrev_co_ci_u32_e32 v2, vcc_lo, 0, v2, vcc_lo
.LBB40_4:
	s_or_b32 exec_lo, exec_lo, s3
	v_cmp_lt_i64_e64 s2, s[12:13], 1
	s_delay_alu instid0(VALU_DEP_1)
	s_and_b32 vcc_lo, exec_lo, s2
	v_cmp_eq_u32_e64 s2, 0, v0
	s_cbranch_vccnz .LBB40_37
; %bb.5:
	v_mbcnt_lo_u32_b32 v5, -1, 0
	v_cvt_f32_u32_e32 v3, s14
	s_sub_i32 s9, 0, s14
	s_load_b64 s[18:19], s[0:1], 0x38
	v_cmp_gt_u32_e64 s3, 0x80, v0
	v_xor_b32_e32 v6, 4, v5
	v_rcp_iflag_f32_e32 v4, v3
	v_xor_b32_e32 v8, 2, v5
	v_xor_b32_e32 v11, 1, v5
	v_dual_mov_b32 v3, 0 :: v_dual_lshlrev_b32 v18, 3, v0
	v_cmp_gt_i32_e32 vcc_lo, 32, v6
	v_and_b32_e32 v17, 7, v0
	v_cmp_gt_u32_e64 s4, 64, v0
	v_cmp_gt_u32_e64 s5, 32, v0
	;; [unrolled: 1-line block ×3, first 2 shown]
	v_cndmask_b32_e32 v6, v5, v6, vcc_lo
	v_cmp_gt_i32_e32 vcc_lo, 32, v8
	v_cmp_gt_u32_e64 s7, 8, v0
	v_cmp_gt_u32_e64 s8, 4, v0
	v_lshl_or_b32 v19, v5, 2, 28
	v_lshlrev_b32_e32 v20, 2, v6
	v_cndmask_b32_e32 v12, v5, v8, vcc_lo
	v_cmp_gt_i32_e32 vcc_lo, 32, v11
	v_mul_f32_e32 v4, 0x4f7ffffe, v4
	s_ashr_i32 s20, s15, 31
	v_dual_mov_b32 v24, 1 :: v_dual_cndmask_b32 v11, v5, v11
	s_delay_alu instid0(VALU_DEP_2) | instskip(NEXT) | instid1(VALU_DEP_2)
	v_cvt_u32_f32_e32 v4, v4
	v_lshlrev_b32_e32 v22, 2, v11
	s_delay_alu instid0(VALU_DEP_2) | instskip(SKIP_1) | instid1(VALU_DEP_2)
	v_mul_lo_u32 v7, s9, v4
	v_cmp_gt_u32_e64 s9, 2, v0
	v_mul_hi_u32 v13, v4, v7
	v_mov_b32_e32 v7, 0
	v_dual_mov_b32 v8, 0 :: v_dual_lshlrev_b32 v21, 2, v12
	s_delay_alu instid0(VALU_DEP_3)
	v_add_nc_u32_e32 v23, v4, v13
	s_branch .LBB40_7
.LBB40_6:                               ;   in Loop: Header=BB40_7 Depth=1
	s_or_b32 exec_lo, exec_lo, s10
	s_waitcnt lgkmcnt(0)
	s_barrier
	buffer_gl0_inv
	ds_load_b64 v[7:8], v3
	s_waitcnt lgkmcnt(0)
	s_barrier
	buffer_gl0_inv
	v_cmp_gt_i64_e32 vcc_lo, s[12:13], v[7:8]
	s_cbranch_vccz .LBB40_37
.LBB40_7:                               ; =>This Loop Header: Depth=1
                                        ;     Child Loop BB40_10 Depth 2
	v_add_co_u32 v9, vcc_lo, v9, v17
	v_add_co_ci_u32_e32 v10, vcc_lo, 0, v10, vcc_lo
	v_dual_mov_b32 v5, s12 :: v_dual_mov_b32 v6, s13
	v_dual_mov_b32 v16, v2 :: v_dual_mov_b32 v15, v1
	s_mov_b32 s24, exec_lo
	ds_store_b8 v3, v3 offset:2056
	s_waitcnt lgkmcnt(0)
	s_barrier
	buffer_gl0_inv
	v_cmpx_lt_i64_e64 v[9:10], v[1:2]
	s_cbranch_execz .LBB40_19
; %bb.8:                                ;   in Loop: Header=BB40_7 Depth=1
	v_lshlrev_b64 v[11:12], 3, v[9:10]
	v_dual_mov_b32 v5, s12 :: v_dual_mov_b32 v6, s13
	v_dual_mov_b32 v14, v2 :: v_dual_mov_b32 v13, v1
	s_mov_b32 s25, 0
	s_delay_alu instid0(VALU_DEP_3) | instskip(NEXT) | instid1(VALU_DEP_4)
	v_add_co_u32 v11, vcc_lo, s18, v11
	v_add_co_ci_u32_e32 v12, vcc_lo, s19, v12, vcc_lo
	s_branch .LBB40_10
.LBB40_9:                               ;   in Loop: Header=BB40_10 Depth=2
	s_or_b32 exec_lo, exec_lo, s10
	v_add_co_u32 v9, s10, v9, 8
	s_delay_alu instid0(VALU_DEP_1) | instskip(SKIP_2) | instid1(VALU_DEP_2)
	v_add_co_ci_u32_e64 v10, s10, 0, v10, s10
	s_xor_b32 s21, vcc_lo, -1
	v_add_co_u32 v11, vcc_lo, v11, 64
	v_cmp_ge_i64_e64 s10, v[9:10], v[1:2]
	v_add_co_ci_u32_e32 v12, vcc_lo, 0, v12, vcc_lo
	v_dual_mov_b32 v13, v15 :: v_dual_mov_b32 v14, v16
	s_delay_alu instid0(VALU_DEP_3) | instskip(NEXT) | instid1(SALU_CYCLE_1)
	s_or_b32 s10, s21, s10
	s_and_b32 s10, exec_lo, s10
	s_delay_alu instid0(SALU_CYCLE_1) | instskip(NEXT) | instid1(SALU_CYCLE_1)
	s_or_b32 s25, s10, s25
	s_and_not1_b32 exec_lo, exec_lo, s25
	s_cbranch_execz .LBB40_18
.LBB40_10:                              ;   Parent Loop BB40_7 Depth=1
                                        ; =>  This Inner Loop Header: Depth=2
	global_load_b64 v[15:16], v[11:12], off
	s_mov_b32 s10, exec_lo
	s_waitcnt vmcnt(0)
	v_sub_co_u32 v25, vcc_lo, v15, s11
	v_subrev_co_ci_u32_e32 v26, vcc_lo, 0, v16, vcc_lo
                                        ; implicit-def: $vgpr15_vgpr16
	s_delay_alu instid0(VALU_DEP_1) | instskip(NEXT) | instid1(VALU_DEP_1)
	v_or_b32_e32 v4, s15, v26
	v_cmpx_ne_u64_e32 0, v[3:4]
	s_xor_b32 s26, exec_lo, s10
	s_cbranch_execz .LBB40_12
; %bb.11:                               ;   in Loop: Header=BB40_10 Depth=2
	s_add_u32 s22, s14, s20
	s_mov_b32 s21, s20
	s_addc_u32 s23, s15, s20
	s_delay_alu instid0(SALU_CYCLE_1) | instskip(NEXT) | instid1(SALU_CYCLE_1)
	s_xor_b64 s[22:23], s[22:23], s[20:21]
	v_cvt_f32_u32_e32 v4, s22
	v_cvt_f32_u32_e32 v15, s23
	s_sub_u32 s10, 0, s22
	s_subb_u32 s21, 0, s23
	s_delay_alu instid0(VALU_DEP_1) | instskip(NEXT) | instid1(VALU_DEP_1)
	v_fmac_f32_e32 v4, 0x4f800000, v15
	v_rcp_f32_e32 v4, v4
	s_waitcnt_depctr 0xfff
	v_mul_f32_e32 v4, 0x5f7ffffc, v4
	s_delay_alu instid0(VALU_DEP_1) | instskip(NEXT) | instid1(VALU_DEP_1)
	v_mul_f32_e32 v15, 0x2f800000, v4
	v_trunc_f32_e32 v15, v15
	s_delay_alu instid0(VALU_DEP_1) | instskip(SKIP_1) | instid1(VALU_DEP_2)
	v_fmac_f32_e32 v4, 0xcf800000, v15
	v_cvt_u32_f32_e32 v15, v15
	v_cvt_u32_f32_e32 v4, v4
	s_delay_alu instid0(VALU_DEP_2) | instskip(NEXT) | instid1(VALU_DEP_2)
	v_mul_lo_u32 v16, s10, v15
	v_mul_hi_u32 v27, s10, v4
	v_mul_lo_u32 v28, s21, v4
	s_delay_alu instid0(VALU_DEP_2) | instskip(SKIP_1) | instid1(VALU_DEP_2)
	v_add_nc_u32_e32 v16, v27, v16
	v_mul_lo_u32 v27, s10, v4
	v_add_nc_u32_e32 v16, v16, v28
	s_delay_alu instid0(VALU_DEP_2) | instskip(NEXT) | instid1(VALU_DEP_2)
	v_mul_hi_u32 v28, v4, v27
	v_mul_lo_u32 v29, v4, v16
	v_mul_hi_u32 v30, v4, v16
	v_mul_hi_u32 v31, v15, v27
	v_mul_lo_u32 v27, v15, v27
	v_mul_hi_u32 v32, v15, v16
	v_mul_lo_u32 v16, v15, v16
	v_add_co_u32 v28, vcc_lo, v28, v29
	v_add_co_ci_u32_e32 v29, vcc_lo, 0, v30, vcc_lo
	s_delay_alu instid0(VALU_DEP_2) | instskip(NEXT) | instid1(VALU_DEP_2)
	v_add_co_u32 v27, vcc_lo, v28, v27
	v_add_co_ci_u32_e32 v27, vcc_lo, v29, v31, vcc_lo
	v_add_co_ci_u32_e32 v28, vcc_lo, 0, v32, vcc_lo
	v_ashrrev_i32_e32 v31, 31, v26
	s_delay_alu instid0(VALU_DEP_3) | instskip(NEXT) | instid1(VALU_DEP_3)
	v_add_co_u32 v16, vcc_lo, v27, v16
	v_add_co_ci_u32_e32 v27, vcc_lo, 0, v28, vcc_lo
	s_delay_alu instid0(VALU_DEP_2) | instskip(NEXT) | instid1(VALU_DEP_2)
	v_add_co_u32 v4, vcc_lo, v4, v16
	v_add_co_ci_u32_e32 v15, vcc_lo, v15, v27, vcc_lo
	s_delay_alu instid0(VALU_DEP_2) | instskip(SKIP_1) | instid1(VALU_DEP_3)
	v_mul_hi_u32 v16, s10, v4
	v_mul_lo_u32 v28, s21, v4
	v_mul_lo_u32 v27, s10, v15
	s_delay_alu instid0(VALU_DEP_1) | instskip(SKIP_1) | instid1(VALU_DEP_2)
	v_add_nc_u32_e32 v16, v16, v27
	v_mul_lo_u32 v27, s10, v4
	v_add_nc_u32_e32 v16, v16, v28
	s_delay_alu instid0(VALU_DEP_2) | instskip(NEXT) | instid1(VALU_DEP_2)
	v_mul_hi_u32 v28, v4, v27
	v_mul_lo_u32 v29, v4, v16
	v_mul_hi_u32 v30, v4, v16
	v_mul_hi_u32 v32, v15, v27
	v_mul_lo_u32 v27, v15, v27
	v_mul_hi_u32 v33, v15, v16
	v_mul_lo_u32 v16, v15, v16
	v_add_co_u32 v28, vcc_lo, v28, v29
	v_add_co_ci_u32_e32 v29, vcc_lo, 0, v30, vcc_lo
	s_delay_alu instid0(VALU_DEP_2) | instskip(NEXT) | instid1(VALU_DEP_2)
	v_add_co_u32 v27, vcc_lo, v28, v27
	v_add_co_ci_u32_e32 v27, vcc_lo, v29, v32, vcc_lo
	v_add_co_ci_u32_e32 v28, vcc_lo, 0, v33, vcc_lo
	v_add_co_u32 v25, vcc_lo, v25, v31
	v_add_co_ci_u32_e32 v26, vcc_lo, v26, v31, vcc_lo
	s_delay_alu instid0(VALU_DEP_4) | instskip(NEXT) | instid1(VALU_DEP_4)
	v_add_co_u32 v16, vcc_lo, v27, v16
	v_add_co_ci_u32_e32 v27, vcc_lo, 0, v28, vcc_lo
	s_delay_alu instid0(VALU_DEP_4) | instskip(NEXT) | instid1(VALU_DEP_3)
	v_xor_b32_e32 v29, v25, v31
	v_add_co_u32 v4, vcc_lo, v4, v16
	s_delay_alu instid0(VALU_DEP_3) | instskip(SKIP_1) | instid1(VALU_DEP_3)
	v_add_co_ci_u32_e32 v30, vcc_lo, v15, v27, vcc_lo
	v_xor_b32_e32 v32, v26, v31
	v_mul_hi_u32 v33, v29, v4
	s_delay_alu instid0(VALU_DEP_3) | instskip(NEXT) | instid1(VALU_DEP_3)
	v_mad_u64_u32 v[15:16], null, v29, v30, 0
	v_mad_u64_u32 v[25:26], null, v32, v4, 0
	v_mad_u64_u32 v[27:28], null, v32, v30, 0
	s_delay_alu instid0(VALU_DEP_3) | instskip(NEXT) | instid1(VALU_DEP_4)
	v_add_co_u32 v4, vcc_lo, v33, v15
	v_add_co_ci_u32_e32 v15, vcc_lo, 0, v16, vcc_lo
	s_delay_alu instid0(VALU_DEP_2) | instskip(NEXT) | instid1(VALU_DEP_2)
	v_add_co_u32 v4, vcc_lo, v4, v25
	v_add_co_ci_u32_e32 v4, vcc_lo, v15, v26, vcc_lo
	v_add_co_ci_u32_e32 v15, vcc_lo, 0, v28, vcc_lo
	s_delay_alu instid0(VALU_DEP_2) | instskip(NEXT) | instid1(VALU_DEP_2)
	v_add_co_u32 v4, vcc_lo, v4, v27
	v_add_co_ci_u32_e32 v25, vcc_lo, 0, v15, vcc_lo
	s_delay_alu instid0(VALU_DEP_2) | instskip(SKIP_1) | instid1(VALU_DEP_3)
	v_mul_lo_u32 v26, s23, v4
	v_mad_u64_u32 v[15:16], null, s22, v4, 0
	v_mul_lo_u32 v27, s22, v25
	s_delay_alu instid0(VALU_DEP_2) | instskip(NEXT) | instid1(VALU_DEP_2)
	v_sub_co_u32 v15, vcc_lo, v29, v15
	v_add3_u32 v16, v16, v27, v26
	s_delay_alu instid0(VALU_DEP_1) | instskip(NEXT) | instid1(VALU_DEP_1)
	v_sub_nc_u32_e32 v26, v32, v16
	v_subrev_co_ci_u32_e64 v26, s10, s23, v26, vcc_lo
	v_add_co_u32 v27, s10, v4, 2
	s_delay_alu instid0(VALU_DEP_1) | instskip(SKIP_3) | instid1(VALU_DEP_3)
	v_add_co_ci_u32_e64 v28, s10, 0, v25, s10
	v_sub_co_u32 v29, s10, v15, s22
	v_sub_co_ci_u32_e32 v16, vcc_lo, v32, v16, vcc_lo
	v_subrev_co_ci_u32_e64 v26, s10, 0, v26, s10
	v_cmp_le_u32_e32 vcc_lo, s22, v29
	s_delay_alu instid0(VALU_DEP_3) | instskip(SKIP_1) | instid1(VALU_DEP_4)
	v_cmp_eq_u32_e64 s10, s23, v16
	v_cndmask_b32_e64 v29, 0, -1, vcc_lo
	v_cmp_le_u32_e32 vcc_lo, s23, v26
	v_cndmask_b32_e64 v30, 0, -1, vcc_lo
	v_cmp_le_u32_e32 vcc_lo, s22, v15
	;; [unrolled: 2-line block ×3, first 2 shown]
	v_cndmask_b32_e64 v32, 0, -1, vcc_lo
	v_cmp_eq_u32_e32 vcc_lo, s23, v26
	s_delay_alu instid0(VALU_DEP_2) | instskip(SKIP_3) | instid1(VALU_DEP_3)
	v_cndmask_b32_e64 v15, v32, v15, s10
	v_cndmask_b32_e32 v26, v30, v29, vcc_lo
	v_add_co_u32 v29, vcc_lo, v4, 1
	v_add_co_ci_u32_e32 v30, vcc_lo, 0, v25, vcc_lo
	v_cmp_ne_u32_e32 vcc_lo, 0, v26
	s_delay_alu instid0(VALU_DEP_2) | instskip(NEXT) | instid1(VALU_DEP_4)
	v_cndmask_b32_e32 v16, v30, v28, vcc_lo
	v_cndmask_b32_e32 v26, v29, v27, vcc_lo
	v_cmp_ne_u32_e32 vcc_lo, 0, v15
	v_xor_b32_e32 v27, s20, v31
	s_delay_alu instid0(VALU_DEP_3) | instskip(NEXT) | instid1(VALU_DEP_1)
	v_dual_cndmask_b32 v4, v4, v26 :: v_dual_cndmask_b32 v15, v25, v16
                                        ; implicit-def: $vgpr25
	v_xor_b32_e32 v4, v4, v27
	s_delay_alu instid0(VALU_DEP_2) | instskip(NEXT) | instid1(VALU_DEP_2)
	v_xor_b32_e32 v16, v15, v27
	v_sub_co_u32 v15, vcc_lo, v4, v27
	s_delay_alu instid0(VALU_DEP_2)
	v_sub_co_ci_u32_e32 v16, vcc_lo, v16, v27, vcc_lo
.LBB40_12:                              ;   in Loop: Header=BB40_10 Depth=2
	s_and_not1_saveexec_b32 s10, s26
; %bb.13:                               ;   in Loop: Header=BB40_10 Depth=2
	v_mul_hi_u32 v4, v25, v23
	s_delay_alu instid0(VALU_DEP_1) | instskip(NEXT) | instid1(VALU_DEP_1)
	v_mul_lo_u32 v15, v4, s14
	v_sub_nc_u32_e32 v15, v25, v15
	s_delay_alu instid0(VALU_DEP_1) | instskip(SKIP_1) | instid1(VALU_DEP_2)
	v_subrev_nc_u32_e32 v25, s14, v15
	v_cmp_le_u32_e32 vcc_lo, s14, v15
	v_dual_cndmask_b32 v15, v15, v25 :: v_dual_add_nc_u32 v16, 1, v4
	s_delay_alu instid0(VALU_DEP_1) | instskip(NEXT) | instid1(VALU_DEP_2)
	v_cndmask_b32_e32 v4, v4, v16, vcc_lo
	v_cmp_le_u32_e32 vcc_lo, s14, v15
	s_delay_alu instid0(VALU_DEP_2) | instskip(NEXT) | instid1(VALU_DEP_1)
	v_add_nc_u32_e32 v16, 1, v4
	v_dual_cndmask_b32 v15, v4, v16 :: v_dual_mov_b32 v16, v3
; %bb.14:                               ;   in Loop: Header=BB40_10 Depth=2
	s_or_b32 exec_lo, exec_lo, s10
	s_delay_alu instid0(VALU_DEP_1)
	v_cmp_eq_u64_e32 vcc_lo, v[15:16], v[7:8]
	s_mov_b32 s21, exec_lo
	v_cmpx_ne_u64_e64 v[15:16], v[7:8]
	s_xor_b32 s21, exec_lo, s21
; %bb.15:                               ;   in Loop: Header=BB40_10 Depth=2
	v_cmp_lt_i64_e64 s10, v[15:16], v[5:6]
                                        ; implicit-def: $vgpr13_vgpr14
	s_delay_alu instid0(VALU_DEP_1)
	v_cndmask_b32_e64 v6, v6, v16, s10
	v_cndmask_b32_e64 v5, v5, v15, s10
; %bb.16:                               ;   in Loop: Header=BB40_10 Depth=2
	s_or_saveexec_b32 s10, s21
	v_dual_mov_b32 v16, v10 :: v_dual_mov_b32 v15, v9
	s_xor_b32 exec_lo, exec_lo, s10
	s_cbranch_execz .LBB40_9
; %bb.17:                               ;   in Loop: Header=BB40_10 Depth=2
	v_dual_mov_b32 v16, v14 :: v_dual_mov_b32 v15, v13
	ds_store_b8 v3, v24 offset:2056
	s_branch .LBB40_9
.LBB40_18:                              ;   in Loop: Header=BB40_7 Depth=1
	s_or_b32 exec_lo, exec_lo, s25
.LBB40_19:                              ;   in Loop: Header=BB40_7 Depth=1
	s_delay_alu instid0(SALU_CYCLE_1)
	s_or_b32 exec_lo, exec_lo, s24
	ds_bpermute_b32 v7, v20, v15
	ds_bpermute_b32 v8, v20, v16
	s_waitcnt lgkmcnt(0)
	s_barrier
	buffer_gl0_inv
	ds_load_u8 v4, v3 offset:2056
	v_cmp_lt_i64_e32 vcc_lo, v[7:8], v[15:16]
	s_waitcnt lgkmcnt(0)
	v_readfirstlane_b32 s10, v4
	v_dual_cndmask_b32 v8, v16, v8 :: v_dual_cndmask_b32 v7, v15, v7
	s_delay_alu instid0(VALU_DEP_2) | instskip(SKIP_3) | instid1(SALU_CYCLE_1)
	s_bitcmp1_b32 s10, 0
	ds_bpermute_b32 v10, v21, v8
	ds_bpermute_b32 v9, v21, v7
	s_cselect_b32 s10, -1, 0
	s_and_b32 s21, s2, s10
	s_waitcnt lgkmcnt(0)
	v_cmp_lt_i64_e32 vcc_lo, v[9:10], v[7:8]
	v_dual_cndmask_b32 v8, v8, v10 :: v_dual_cndmask_b32 v7, v7, v9
	ds_bpermute_b32 v10, v22, v8
	ds_bpermute_b32 v9, v22, v7
	s_waitcnt lgkmcnt(0)
	v_cmp_lt_i64_e32 vcc_lo, v[9:10], v[7:8]
	v_dual_cndmask_b32 v8, v8, v10 :: v_dual_cndmask_b32 v7, v7, v9
	ds_bpermute_b32 v10, v19, v8
	ds_bpermute_b32 v9, v19, v7
	s_and_saveexec_b32 s10, s21
	s_cbranch_execz .LBB40_21
; %bb.20:                               ;   in Loop: Header=BB40_7 Depth=1
	ds_load_b64 v[7:8], v3 offset:2048
	s_waitcnt lgkmcnt(0)
	v_add_co_u32 v7, vcc_lo, v7, 1
	v_add_co_ci_u32_e32 v8, vcc_lo, 0, v8, vcc_lo
	ds_store_b64 v3, v[7:8] offset:2048
.LBB40_21:                              ;   in Loop: Header=BB40_7 Depth=1
	s_or_b32 exec_lo, exec_lo, s10
	ds_store_b64 v18, v[5:6]
	s_waitcnt lgkmcnt(0)
	s_barrier
	buffer_gl0_inv
	s_and_saveexec_b32 s10, s3
	s_cbranch_execz .LBB40_23
; %bb.22:                               ;   in Loop: Header=BB40_7 Depth=1
	ds_load_2addr_stride64_b64 v[4:7], v18 offset1:2
	s_waitcnt lgkmcnt(0)
	v_cmp_lt_i64_e32 vcc_lo, v[6:7], v[4:5]
	v_dual_cndmask_b32 v5, v5, v7 :: v_dual_cndmask_b32 v4, v4, v6
	ds_store_b64 v18, v[4:5]
.LBB40_23:                              ;   in Loop: Header=BB40_7 Depth=1
	s_or_b32 exec_lo, exec_lo, s10
	s_waitcnt lgkmcnt(0)
	s_barrier
	buffer_gl0_inv
	s_and_saveexec_b32 s10, s4
	s_cbranch_execz .LBB40_25
; %bb.24:                               ;   in Loop: Header=BB40_7 Depth=1
	ds_load_2addr_stride64_b64 v[4:7], v18 offset1:1
	s_waitcnt lgkmcnt(0)
	v_cmp_lt_i64_e32 vcc_lo, v[6:7], v[4:5]
	v_dual_cndmask_b32 v5, v5, v7 :: v_dual_cndmask_b32 v4, v4, v6
	ds_store_b64 v18, v[4:5]
.LBB40_25:                              ;   in Loop: Header=BB40_7 Depth=1
	s_or_b32 exec_lo, exec_lo, s10
	s_waitcnt lgkmcnt(0)
	s_barrier
	buffer_gl0_inv
	s_and_saveexec_b32 s10, s5
	s_cbranch_execz .LBB40_27
; %bb.26:                               ;   in Loop: Header=BB40_7 Depth=1
	ds_load_2addr_b64 v[4:7], v18 offset1:32
	s_waitcnt lgkmcnt(0)
	v_cmp_lt_i64_e32 vcc_lo, v[6:7], v[4:5]
	v_dual_cndmask_b32 v5, v5, v7 :: v_dual_cndmask_b32 v4, v4, v6
	ds_store_b64 v18, v[4:5]
.LBB40_27:                              ;   in Loop: Header=BB40_7 Depth=1
	s_or_b32 exec_lo, exec_lo, s10
	s_waitcnt lgkmcnt(0)
	s_barrier
	buffer_gl0_inv
	s_and_saveexec_b32 s10, s6
	s_cbranch_execz .LBB40_29
; %bb.28:                               ;   in Loop: Header=BB40_7 Depth=1
	ds_load_2addr_b64 v[4:7], v18 offset1:16
	s_waitcnt lgkmcnt(0)
	v_cmp_lt_i64_e32 vcc_lo, v[6:7], v[4:5]
	v_dual_cndmask_b32 v5, v5, v7 :: v_dual_cndmask_b32 v4, v4, v6
	ds_store_b64 v18, v[4:5]
.LBB40_29:                              ;   in Loop: Header=BB40_7 Depth=1
	;; [unrolled: 13-line block ×5, first 2 shown]
	s_or_b32 exec_lo, exec_lo, s10
	s_waitcnt lgkmcnt(0)
	s_barrier
	buffer_gl0_inv
	s_and_saveexec_b32 s10, s2
	s_cbranch_execz .LBB40_6
; %bb.36:                               ;   in Loop: Header=BB40_7 Depth=1
	ds_load_b128 v[4:7], v3
	s_waitcnt lgkmcnt(0)
	v_cmp_lt_i64_e32 vcc_lo, v[6:7], v[4:5]
	v_dual_cndmask_b32 v5, v5, v7 :: v_dual_cndmask_b32 v4, v4, v6
	ds_store_b64 v3, v[4:5]
	s_branch .LBB40_6
.LBB40_37:
	s_mov_b32 s2, exec_lo
	v_cmpx_eq_u32_e32 0, v0
	s_cbranch_execz .LBB40_39
; %bb.38:
	s_load_b32 s2, s[0:1], 0x40
	v_mov_b32_e32 v1, 0
	s_load_b64 s[0:1], s[0:1], 0x48
	s_waitcnt lgkmcnt(0)
	v_mov_b32_e32 v0, s2
	ds_load_b64 v[2:3], v1 offset:2048
	s_lshl_b64 s[2:3], s[16:17], 3
	s_delay_alu instid0(SALU_CYCLE_1)
	s_add_u32 s2, s0, s2
	s_addc_u32 s3, s1, s3
	global_store_b64 v1, v[0:1], s[0:1]
	s_waitcnt lgkmcnt(0)
	global_store_b64 v1, v[2:3], s[2:3] offset:8
.LBB40_39:
	s_nop 0
	s_sendmsg sendmsg(MSG_DEALLOC_VGPRS)
	s_endpgm
	.section	.rodata,"a",@progbits
	.p2align	6, 0x0
	.amdhsa_kernel _ZN9rocsparseL42csr2bsr_nnz_block_per_row_multipass_kernelILj256ELj32EllEEvT2_S1_S1_S1_S1_21rocsparse_index_base_PKT1_PKS1_S2_PS3_
		.amdhsa_group_segment_fixed_size 2064
		.amdhsa_private_segment_fixed_size 0
		.amdhsa_kernarg_size 80
		.amdhsa_user_sgpr_count 15
		.amdhsa_user_sgpr_dispatch_ptr 0
		.amdhsa_user_sgpr_queue_ptr 0
		.amdhsa_user_sgpr_kernarg_segment_ptr 1
		.amdhsa_user_sgpr_dispatch_id 0
		.amdhsa_user_sgpr_private_segment_size 0
		.amdhsa_wavefront_size32 1
		.amdhsa_uses_dynamic_stack 0
		.amdhsa_enable_private_segment 0
		.amdhsa_system_sgpr_workgroup_id_x 1
		.amdhsa_system_sgpr_workgroup_id_y 0
		.amdhsa_system_sgpr_workgroup_id_z 0
		.amdhsa_system_sgpr_workgroup_info 0
		.amdhsa_system_vgpr_workitem_id 0
		.amdhsa_next_free_vgpr 34
		.amdhsa_next_free_sgpr 27
		.amdhsa_reserve_vcc 1
		.amdhsa_float_round_mode_32 0
		.amdhsa_float_round_mode_16_64 0
		.amdhsa_float_denorm_mode_32 3
		.amdhsa_float_denorm_mode_16_64 3
		.amdhsa_dx10_clamp 1
		.amdhsa_ieee_mode 1
		.amdhsa_fp16_overflow 0
		.amdhsa_workgroup_processor_mode 1
		.amdhsa_memory_ordered 1
		.amdhsa_forward_progress 0
		.amdhsa_shared_vgpr_count 0
		.amdhsa_exception_fp_ieee_invalid_op 0
		.amdhsa_exception_fp_denorm_src 0
		.amdhsa_exception_fp_ieee_div_zero 0
		.amdhsa_exception_fp_ieee_overflow 0
		.amdhsa_exception_fp_ieee_underflow 0
		.amdhsa_exception_fp_ieee_inexact 0
		.amdhsa_exception_int_div_zero 0
	.end_amdhsa_kernel
	.section	.text._ZN9rocsparseL42csr2bsr_nnz_block_per_row_multipass_kernelILj256ELj32EllEEvT2_S1_S1_S1_S1_21rocsparse_index_base_PKT1_PKS1_S2_PS3_,"axG",@progbits,_ZN9rocsparseL42csr2bsr_nnz_block_per_row_multipass_kernelILj256ELj32EllEEvT2_S1_S1_S1_S1_21rocsparse_index_base_PKT1_PKS1_S2_PS3_,comdat
.Lfunc_end40:
	.size	_ZN9rocsparseL42csr2bsr_nnz_block_per_row_multipass_kernelILj256ELj32EllEEvT2_S1_S1_S1_S1_21rocsparse_index_base_PKT1_PKS1_S2_PS3_, .Lfunc_end40-_ZN9rocsparseL42csr2bsr_nnz_block_per_row_multipass_kernelILj256ELj32EllEEvT2_S1_S1_S1_S1_21rocsparse_index_base_PKT1_PKS1_S2_PS3_
                                        ; -- End function
	.section	.AMDGPU.csdata,"",@progbits
; Kernel info:
; codeLenInByte = 2616
; NumSgprs: 29
; NumVgprs: 34
; ScratchSize: 0
; MemoryBound: 0
; FloatMode: 240
; IeeeMode: 1
; LDSByteSize: 2064 bytes/workgroup (compile time only)
; SGPRBlocks: 3
; VGPRBlocks: 4
; NumSGPRsForWavesPerEU: 29
; NumVGPRsForWavesPerEU: 34
; Occupancy: 16
; WaveLimiterHint : 0
; COMPUTE_PGM_RSRC2:SCRATCH_EN: 0
; COMPUTE_PGM_RSRC2:USER_SGPR: 15
; COMPUTE_PGM_RSRC2:TRAP_HANDLER: 0
; COMPUTE_PGM_RSRC2:TGID_X_EN: 1
; COMPUTE_PGM_RSRC2:TGID_Y_EN: 0
; COMPUTE_PGM_RSRC2:TGID_Z_EN: 0
; COMPUTE_PGM_RSRC2:TIDIG_COMP_CNT: 0
	.section	.text._ZN9rocsparseL42csr2bsr_nnz_block_per_row_multipass_kernelILj256ELj64EllEEvT2_S1_S1_S1_S1_21rocsparse_index_base_PKT1_PKS1_S2_PS3_,"axG",@progbits,_ZN9rocsparseL42csr2bsr_nnz_block_per_row_multipass_kernelILj256ELj64EllEEvT2_S1_S1_S1_S1_21rocsparse_index_base_PKT1_PKS1_S2_PS3_,comdat
	.globl	_ZN9rocsparseL42csr2bsr_nnz_block_per_row_multipass_kernelILj256ELj64EllEEvT2_S1_S1_S1_S1_21rocsparse_index_base_PKT1_PKS1_S2_PS3_ ; -- Begin function _ZN9rocsparseL42csr2bsr_nnz_block_per_row_multipass_kernelILj256ELj64EllEEvT2_S1_S1_S1_S1_21rocsparse_index_base_PKT1_PKS1_S2_PS3_
	.p2align	8
	.type	_ZN9rocsparseL42csr2bsr_nnz_block_per_row_multipass_kernelILj256ELj64EllEEvT2_S1_S1_S1_S1_21rocsparse_index_base_PKT1_PKS1_S2_PS3_,@function
_ZN9rocsparseL42csr2bsr_nnz_block_per_row_multipass_kernelILj256ELj64EllEEvT2_S1_S1_S1_S1_21rocsparse_index_base_PKT1_PKS1_S2_PS3_: ; @_ZN9rocsparseL42csr2bsr_nnz_block_per_row_multipass_kernelILj256ELj64EllEEvT2_S1_S1_S1_S1_21rocsparse_index_base_PKT1_PKS1_S2_PS3_
; %bb.0:
	s_mov_b32 s16, s15
	s_clause 0x1
	s_load_b128 s[12:15], s[0:1], 0x18
	s_load_b64 s[2:3], s[0:1], 0x0
	v_dual_mov_b32 v6, 0 :: v_dual_mov_b32 v1, 0
	v_lshrrev_b32_e32 v5, 2, v0
	s_clause 0x1
	s_load_b32 s11, s[0:1], 0x28
	s_load_b64 s[4:5], s[0:1], 0x30
	s_ashr_i32 s17, s16, 31
	v_dual_mov_b32 v2, 0 :: v_dual_mov_b32 v7, v6
	v_mov_b32_e32 v8, v6
	s_delay_alu instid0(VALU_DEP_2)
	v_dual_mov_b32 v10, v2 :: v_dual_mov_b32 v9, v1
	ds_store_b64 v6, v[7:8] offset:2048
	s_waitcnt lgkmcnt(0)
	s_barrier
	buffer_gl0_inv
	v_mad_u64_u32 v[3:4], null, s16, s14, v[5:6]
	s_mul_i32 s6, s16, s15
	s_mul_i32 s7, s17, s14
	s_delay_alu instid0(VALU_DEP_1) | instid1(SALU_CYCLE_1)
	v_add3_u32 v4, s6, s7, v4
	s_delay_alu instid0(VALU_DEP_1) | instskip(SKIP_1) | instid1(VALU_DEP_1)
	v_cmp_gt_i64_e32 vcc_lo, s[2:3], v[3:4]
	v_cmp_gt_i64_e64 s2, s[14:15], v[5:6]
	s_and_b32 s2, s2, vcc_lo
	s_delay_alu instid0(SALU_CYCLE_1)
	s_and_saveexec_b32 s3, s2
	s_cbranch_execz .LBB41_2
; %bb.1:
	v_lshlrev_b64 v[5:6], 3, v[3:4]
	s_delay_alu instid0(VALU_DEP_1) | instskip(NEXT) | instid1(VALU_DEP_2)
	v_add_co_u32 v5, vcc_lo, s4, v5
	v_add_co_ci_u32_e32 v6, vcc_lo, s5, v6, vcc_lo
	global_load_b64 v[5:6], v[5:6], off
	s_waitcnt vmcnt(0)
	v_sub_co_u32 v9, vcc_lo, v5, s11
	v_subrev_co_ci_u32_e32 v10, vcc_lo, 0, v6, vcc_lo
.LBB41_2:
	s_or_b32 exec_lo, exec_lo, s3
	s_and_saveexec_b32 s3, s2
	s_cbranch_execz .LBB41_4
; %bb.3:
	v_lshlrev_b64 v[1:2], 3, v[3:4]
	s_delay_alu instid0(VALU_DEP_1) | instskip(NEXT) | instid1(VALU_DEP_2)
	v_add_co_u32 v1, vcc_lo, s4, v1
	v_add_co_ci_u32_e32 v2, vcc_lo, s5, v2, vcc_lo
	global_load_b64 v[1:2], v[1:2], off offset:8
	s_waitcnt vmcnt(0)
	v_sub_co_u32 v1, vcc_lo, v1, s11
	v_subrev_co_ci_u32_e32 v2, vcc_lo, 0, v2, vcc_lo
.LBB41_4:
	s_or_b32 exec_lo, exec_lo, s3
	v_cmp_lt_i64_e64 s2, s[12:13], 1
	s_delay_alu instid0(VALU_DEP_1)
	s_and_b32 vcc_lo, exec_lo, s2
	v_cmp_eq_u32_e64 s2, 0, v0
	s_cbranch_vccnz .LBB41_37
; %bb.5:
	v_cvt_f32_u32_e32 v3, s14
	v_mbcnt_lo_u32_b32 v5, -1, 0
	s_sub_i32 s6, 0, s14
	s_load_b64 s[18:19], s[0:1], 0x38
	v_cmp_gt_u32_e64 s3, 0x80, v0
	v_rcp_iflag_f32_e32 v3, v3
	v_xor_b32_e32 v7, 2, v5
	v_xor_b32_e32 v8, 1, v5
	v_cmp_gt_u32_e64 s4, 64, v0
	v_cmp_gt_u32_e64 s5, 32, v0
	;; [unrolled: 1-line block ×3, first 2 shown]
	v_cmp_gt_i32_e32 vcc_lo, 32, v7
	v_cmp_gt_u32_e64 s8, 4, v0
	v_cmp_gt_u32_e64 s9, 2, v0
	v_lshl_or_b32 v19, v5, 2, 12
	v_dual_mul_f32 v4, 0x4f7ffffe, v3 :: v_dual_and_b32 v17, 3, v0
	v_cndmask_b32_e32 v11, v5, v7, vcc_lo
	v_cmp_gt_i32_e32 vcc_lo, 32, v8
	v_dual_mov_b32 v3, 0 :: v_dual_lshlrev_b32 v18, 3, v0
	s_delay_alu instid0(VALU_DEP_4) | instskip(SKIP_3) | instid1(VALU_DEP_4)
	v_cvt_u32_f32_e32 v4, v4
	v_dual_mov_b32 v23, 1 :: v_dual_cndmask_b32 v12, v5, v8
	v_mov_b32_e32 v7, 0
	v_mov_b32_e32 v8, 0
	v_mul_lo_u32 v6, s6, v4
	v_cmp_gt_u32_e64 s6, 16, v0
	v_lshlrev_b32_e32 v20, 2, v11
	v_lshlrev_b32_e32 v21, 2, v12
	s_ashr_i32 s20, s15, 31
	s_delay_alu instid0(VALU_DEP_4) | instskip(NEXT) | instid1(VALU_DEP_1)
	v_mul_hi_u32 v6, v4, v6
	v_add_nc_u32_e32 v22, v4, v6
	s_branch .LBB41_7
.LBB41_6:                               ;   in Loop: Header=BB41_7 Depth=1
	s_or_b32 exec_lo, exec_lo, s10
	s_waitcnt lgkmcnt(0)
	s_barrier
	buffer_gl0_inv
	ds_load_b64 v[7:8], v3
	s_waitcnt lgkmcnt(0)
	s_barrier
	buffer_gl0_inv
	v_cmp_gt_i64_e32 vcc_lo, s[12:13], v[7:8]
	s_cbranch_vccz .LBB41_37
.LBB41_7:                               ; =>This Loop Header: Depth=1
                                        ;     Child Loop BB41_10 Depth 2
	v_add_co_u32 v9, vcc_lo, v9, v17
	v_add_co_ci_u32_e32 v10, vcc_lo, 0, v10, vcc_lo
	v_dual_mov_b32 v5, s12 :: v_dual_mov_b32 v6, s13
	v_dual_mov_b32 v16, v2 :: v_dual_mov_b32 v15, v1
	s_mov_b32 s24, exec_lo
	ds_store_b8 v3, v3 offset:2056
	s_waitcnt lgkmcnt(0)
	s_barrier
	buffer_gl0_inv
	v_cmpx_lt_i64_e64 v[9:10], v[1:2]
	s_cbranch_execz .LBB41_19
; %bb.8:                                ;   in Loop: Header=BB41_7 Depth=1
	v_lshlrev_b64 v[11:12], 3, v[9:10]
	v_dual_mov_b32 v5, s12 :: v_dual_mov_b32 v6, s13
	v_dual_mov_b32 v14, v2 :: v_dual_mov_b32 v13, v1
	s_mov_b32 s25, 0
	s_delay_alu instid0(VALU_DEP_3) | instskip(NEXT) | instid1(VALU_DEP_4)
	v_add_co_u32 v11, vcc_lo, s18, v11
	v_add_co_ci_u32_e32 v12, vcc_lo, s19, v12, vcc_lo
	s_branch .LBB41_10
.LBB41_9:                               ;   in Loop: Header=BB41_10 Depth=2
	s_or_b32 exec_lo, exec_lo, s10
	v_add_co_u32 v9, s10, v9, 4
	s_delay_alu instid0(VALU_DEP_1) | instskip(SKIP_2) | instid1(VALU_DEP_2)
	v_add_co_ci_u32_e64 v10, s10, 0, v10, s10
	s_xor_b32 s21, vcc_lo, -1
	v_add_co_u32 v11, vcc_lo, v11, 32
	v_cmp_ge_i64_e64 s10, v[9:10], v[1:2]
	v_add_co_ci_u32_e32 v12, vcc_lo, 0, v12, vcc_lo
	v_dual_mov_b32 v13, v15 :: v_dual_mov_b32 v14, v16
	s_delay_alu instid0(VALU_DEP_3) | instskip(NEXT) | instid1(SALU_CYCLE_1)
	s_or_b32 s10, s21, s10
	s_and_b32 s10, exec_lo, s10
	s_delay_alu instid0(SALU_CYCLE_1) | instskip(NEXT) | instid1(SALU_CYCLE_1)
	s_or_b32 s25, s10, s25
	s_and_not1_b32 exec_lo, exec_lo, s25
	s_cbranch_execz .LBB41_18
.LBB41_10:                              ;   Parent Loop BB41_7 Depth=1
                                        ; =>  This Inner Loop Header: Depth=2
	global_load_b64 v[15:16], v[11:12], off
	s_mov_b32 s10, exec_lo
	s_waitcnt vmcnt(0)
	v_sub_co_u32 v24, vcc_lo, v15, s11
	v_subrev_co_ci_u32_e32 v25, vcc_lo, 0, v16, vcc_lo
                                        ; implicit-def: $vgpr15_vgpr16
	s_delay_alu instid0(VALU_DEP_1) | instskip(NEXT) | instid1(VALU_DEP_1)
	v_or_b32_e32 v4, s15, v25
	v_cmpx_ne_u64_e32 0, v[3:4]
	s_xor_b32 s26, exec_lo, s10
	s_cbranch_execz .LBB41_12
; %bb.11:                               ;   in Loop: Header=BB41_10 Depth=2
	s_add_u32 s22, s14, s20
	s_mov_b32 s21, s20
	s_addc_u32 s23, s15, s20
	s_delay_alu instid0(SALU_CYCLE_1) | instskip(NEXT) | instid1(SALU_CYCLE_1)
	s_xor_b64 s[22:23], s[22:23], s[20:21]
	v_cvt_f32_u32_e32 v4, s22
	v_cvt_f32_u32_e32 v15, s23
	s_sub_u32 s10, 0, s22
	s_subb_u32 s21, 0, s23
	s_delay_alu instid0(VALU_DEP_1) | instskip(NEXT) | instid1(VALU_DEP_1)
	v_fmac_f32_e32 v4, 0x4f800000, v15
	v_rcp_f32_e32 v4, v4
	s_waitcnt_depctr 0xfff
	v_mul_f32_e32 v4, 0x5f7ffffc, v4
	s_delay_alu instid0(VALU_DEP_1) | instskip(NEXT) | instid1(VALU_DEP_1)
	v_mul_f32_e32 v15, 0x2f800000, v4
	v_trunc_f32_e32 v15, v15
	s_delay_alu instid0(VALU_DEP_1) | instskip(SKIP_1) | instid1(VALU_DEP_2)
	v_fmac_f32_e32 v4, 0xcf800000, v15
	v_cvt_u32_f32_e32 v15, v15
	v_cvt_u32_f32_e32 v4, v4
	s_delay_alu instid0(VALU_DEP_2) | instskip(NEXT) | instid1(VALU_DEP_2)
	v_mul_lo_u32 v16, s10, v15
	v_mul_hi_u32 v26, s10, v4
	v_mul_lo_u32 v27, s21, v4
	s_delay_alu instid0(VALU_DEP_2) | instskip(SKIP_1) | instid1(VALU_DEP_2)
	v_add_nc_u32_e32 v16, v26, v16
	v_mul_lo_u32 v26, s10, v4
	v_add_nc_u32_e32 v16, v16, v27
	s_delay_alu instid0(VALU_DEP_2) | instskip(NEXT) | instid1(VALU_DEP_2)
	v_mul_hi_u32 v27, v4, v26
	v_mul_lo_u32 v28, v4, v16
	v_mul_hi_u32 v29, v4, v16
	v_mul_hi_u32 v30, v15, v26
	v_mul_lo_u32 v26, v15, v26
	v_mul_hi_u32 v31, v15, v16
	v_mul_lo_u32 v16, v15, v16
	v_add_co_u32 v27, vcc_lo, v27, v28
	v_add_co_ci_u32_e32 v28, vcc_lo, 0, v29, vcc_lo
	s_delay_alu instid0(VALU_DEP_2) | instskip(NEXT) | instid1(VALU_DEP_2)
	v_add_co_u32 v26, vcc_lo, v27, v26
	v_add_co_ci_u32_e32 v26, vcc_lo, v28, v30, vcc_lo
	v_add_co_ci_u32_e32 v27, vcc_lo, 0, v31, vcc_lo
	v_ashrrev_i32_e32 v30, 31, v25
	s_delay_alu instid0(VALU_DEP_3) | instskip(NEXT) | instid1(VALU_DEP_3)
	v_add_co_u32 v16, vcc_lo, v26, v16
	v_add_co_ci_u32_e32 v26, vcc_lo, 0, v27, vcc_lo
	s_delay_alu instid0(VALU_DEP_2) | instskip(NEXT) | instid1(VALU_DEP_2)
	v_add_co_u32 v4, vcc_lo, v4, v16
	v_add_co_ci_u32_e32 v15, vcc_lo, v15, v26, vcc_lo
	s_delay_alu instid0(VALU_DEP_2) | instskip(SKIP_1) | instid1(VALU_DEP_3)
	v_mul_hi_u32 v16, s10, v4
	v_mul_lo_u32 v27, s21, v4
	v_mul_lo_u32 v26, s10, v15
	s_delay_alu instid0(VALU_DEP_1) | instskip(SKIP_1) | instid1(VALU_DEP_2)
	v_add_nc_u32_e32 v16, v16, v26
	v_mul_lo_u32 v26, s10, v4
	v_add_nc_u32_e32 v16, v16, v27
	s_delay_alu instid0(VALU_DEP_2) | instskip(NEXT) | instid1(VALU_DEP_2)
	v_mul_hi_u32 v27, v4, v26
	v_mul_lo_u32 v28, v4, v16
	v_mul_hi_u32 v29, v4, v16
	v_mul_hi_u32 v31, v15, v26
	v_mul_lo_u32 v26, v15, v26
	v_mul_hi_u32 v32, v15, v16
	v_mul_lo_u32 v16, v15, v16
	v_add_co_u32 v27, vcc_lo, v27, v28
	v_add_co_ci_u32_e32 v28, vcc_lo, 0, v29, vcc_lo
	s_delay_alu instid0(VALU_DEP_2) | instskip(NEXT) | instid1(VALU_DEP_2)
	v_add_co_u32 v26, vcc_lo, v27, v26
	v_add_co_ci_u32_e32 v26, vcc_lo, v28, v31, vcc_lo
	v_add_co_ci_u32_e32 v27, vcc_lo, 0, v32, vcc_lo
	v_add_co_u32 v24, vcc_lo, v24, v30
	v_add_co_ci_u32_e32 v25, vcc_lo, v25, v30, vcc_lo
	s_delay_alu instid0(VALU_DEP_4) | instskip(NEXT) | instid1(VALU_DEP_4)
	v_add_co_u32 v16, vcc_lo, v26, v16
	v_add_co_ci_u32_e32 v26, vcc_lo, 0, v27, vcc_lo
	s_delay_alu instid0(VALU_DEP_4) | instskip(NEXT) | instid1(VALU_DEP_3)
	v_xor_b32_e32 v28, v24, v30
	v_add_co_u32 v4, vcc_lo, v4, v16
	s_delay_alu instid0(VALU_DEP_3) | instskip(SKIP_1) | instid1(VALU_DEP_3)
	v_add_co_ci_u32_e32 v29, vcc_lo, v15, v26, vcc_lo
	v_xor_b32_e32 v31, v25, v30
	v_mul_hi_u32 v32, v28, v4
	s_delay_alu instid0(VALU_DEP_3) | instskip(NEXT) | instid1(VALU_DEP_3)
	v_mad_u64_u32 v[15:16], null, v28, v29, 0
	v_mad_u64_u32 v[24:25], null, v31, v4, 0
	;; [unrolled: 1-line block ×3, first 2 shown]
	s_delay_alu instid0(VALU_DEP_3) | instskip(NEXT) | instid1(VALU_DEP_4)
	v_add_co_u32 v4, vcc_lo, v32, v15
	v_add_co_ci_u32_e32 v15, vcc_lo, 0, v16, vcc_lo
	s_delay_alu instid0(VALU_DEP_2) | instskip(NEXT) | instid1(VALU_DEP_2)
	v_add_co_u32 v4, vcc_lo, v4, v24
	v_add_co_ci_u32_e32 v4, vcc_lo, v15, v25, vcc_lo
	v_add_co_ci_u32_e32 v15, vcc_lo, 0, v27, vcc_lo
	s_delay_alu instid0(VALU_DEP_2) | instskip(NEXT) | instid1(VALU_DEP_2)
	v_add_co_u32 v4, vcc_lo, v4, v26
	v_add_co_ci_u32_e32 v24, vcc_lo, 0, v15, vcc_lo
	s_delay_alu instid0(VALU_DEP_2) | instskip(SKIP_1) | instid1(VALU_DEP_3)
	v_mul_lo_u32 v25, s23, v4
	v_mad_u64_u32 v[15:16], null, s22, v4, 0
	v_mul_lo_u32 v26, s22, v24
	s_delay_alu instid0(VALU_DEP_2) | instskip(NEXT) | instid1(VALU_DEP_2)
	v_sub_co_u32 v15, vcc_lo, v28, v15
	v_add3_u32 v16, v16, v26, v25
	s_delay_alu instid0(VALU_DEP_1) | instskip(NEXT) | instid1(VALU_DEP_1)
	v_sub_nc_u32_e32 v25, v31, v16
	v_subrev_co_ci_u32_e64 v25, s10, s23, v25, vcc_lo
	v_add_co_u32 v26, s10, v4, 2
	s_delay_alu instid0(VALU_DEP_1) | instskip(SKIP_3) | instid1(VALU_DEP_3)
	v_add_co_ci_u32_e64 v27, s10, 0, v24, s10
	v_sub_co_u32 v28, s10, v15, s22
	v_sub_co_ci_u32_e32 v16, vcc_lo, v31, v16, vcc_lo
	v_subrev_co_ci_u32_e64 v25, s10, 0, v25, s10
	v_cmp_le_u32_e32 vcc_lo, s22, v28
	s_delay_alu instid0(VALU_DEP_3) | instskip(SKIP_1) | instid1(VALU_DEP_4)
	v_cmp_eq_u32_e64 s10, s23, v16
	v_cndmask_b32_e64 v28, 0, -1, vcc_lo
	v_cmp_le_u32_e32 vcc_lo, s23, v25
	v_cndmask_b32_e64 v29, 0, -1, vcc_lo
	v_cmp_le_u32_e32 vcc_lo, s22, v15
	;; [unrolled: 2-line block ×3, first 2 shown]
	v_cndmask_b32_e64 v31, 0, -1, vcc_lo
	v_cmp_eq_u32_e32 vcc_lo, s23, v25
	s_delay_alu instid0(VALU_DEP_2) | instskip(SKIP_3) | instid1(VALU_DEP_3)
	v_cndmask_b32_e64 v15, v31, v15, s10
	v_cndmask_b32_e32 v25, v29, v28, vcc_lo
	v_add_co_u32 v28, vcc_lo, v4, 1
	v_add_co_ci_u32_e32 v29, vcc_lo, 0, v24, vcc_lo
	v_cmp_ne_u32_e32 vcc_lo, 0, v25
	s_delay_alu instid0(VALU_DEP_2) | instskip(SKIP_2) | instid1(VALU_DEP_3)
	v_dual_cndmask_b32 v16, v29, v27 :: v_dual_cndmask_b32 v25, v28, v26
	v_cmp_ne_u32_e32 vcc_lo, 0, v15
	v_xor_b32_e32 v26, s20, v30
	v_cndmask_b32_e32 v15, v24, v16, vcc_lo
	s_delay_alu instid0(VALU_DEP_4) | instskip(NEXT) | instid1(VALU_DEP_2)
	v_cndmask_b32_e32 v4, v4, v25, vcc_lo
                                        ; implicit-def: $vgpr24
	v_xor_b32_e32 v16, v15, v26
	s_delay_alu instid0(VALU_DEP_2) | instskip(NEXT) | instid1(VALU_DEP_1)
	v_xor_b32_e32 v4, v4, v26
	v_sub_co_u32 v15, vcc_lo, v4, v26
	s_delay_alu instid0(VALU_DEP_3)
	v_sub_co_ci_u32_e32 v16, vcc_lo, v16, v26, vcc_lo
.LBB41_12:                              ;   in Loop: Header=BB41_10 Depth=2
	s_and_not1_saveexec_b32 s10, s26
; %bb.13:                               ;   in Loop: Header=BB41_10 Depth=2
	v_mul_hi_u32 v4, v24, v22
	s_delay_alu instid0(VALU_DEP_1) | instskip(SKIP_1) | instid1(VALU_DEP_2)
	v_mul_lo_u32 v15, v4, s14
	v_add_nc_u32_e32 v16, 1, v4
	v_sub_nc_u32_e32 v15, v24, v15
	s_delay_alu instid0(VALU_DEP_1) | instskip(SKIP_1) | instid1(VALU_DEP_2)
	v_subrev_nc_u32_e32 v24, s14, v15
	v_cmp_le_u32_e32 vcc_lo, s14, v15
	v_cndmask_b32_e32 v15, v15, v24, vcc_lo
	v_cndmask_b32_e32 v4, v4, v16, vcc_lo
	s_delay_alu instid0(VALU_DEP_2) | instskip(NEXT) | instid1(VALU_DEP_2)
	v_cmp_le_u32_e32 vcc_lo, s14, v15
	v_add_nc_u32_e32 v16, 1, v4
	s_delay_alu instid0(VALU_DEP_1)
	v_dual_cndmask_b32 v15, v4, v16 :: v_dual_mov_b32 v16, v3
; %bb.14:                               ;   in Loop: Header=BB41_10 Depth=2
	s_or_b32 exec_lo, exec_lo, s10
	s_delay_alu instid0(VALU_DEP_1)
	v_cmp_eq_u64_e32 vcc_lo, v[15:16], v[7:8]
	s_mov_b32 s21, exec_lo
	v_cmpx_ne_u64_e64 v[15:16], v[7:8]
	s_xor_b32 s21, exec_lo, s21
; %bb.15:                               ;   in Loop: Header=BB41_10 Depth=2
	v_cmp_lt_i64_e64 s10, v[15:16], v[5:6]
                                        ; implicit-def: $vgpr13_vgpr14
	s_delay_alu instid0(VALU_DEP_1)
	v_cndmask_b32_e64 v6, v6, v16, s10
	v_cndmask_b32_e64 v5, v5, v15, s10
; %bb.16:                               ;   in Loop: Header=BB41_10 Depth=2
	s_or_saveexec_b32 s10, s21
	v_dual_mov_b32 v16, v10 :: v_dual_mov_b32 v15, v9
	s_xor_b32 exec_lo, exec_lo, s10
	s_cbranch_execz .LBB41_9
; %bb.17:                               ;   in Loop: Header=BB41_10 Depth=2
	v_dual_mov_b32 v16, v14 :: v_dual_mov_b32 v15, v13
	ds_store_b8 v3, v23 offset:2056
	s_branch .LBB41_9
.LBB41_18:                              ;   in Loop: Header=BB41_7 Depth=1
	s_or_b32 exec_lo, exec_lo, s25
.LBB41_19:                              ;   in Loop: Header=BB41_7 Depth=1
	s_delay_alu instid0(SALU_CYCLE_1)
	s_or_b32 exec_lo, exec_lo, s24
	ds_bpermute_b32 v7, v20, v15
	ds_bpermute_b32 v8, v20, v16
	s_waitcnt lgkmcnt(0)
	s_barrier
	buffer_gl0_inv
	ds_load_u8 v4, v3 offset:2056
	v_cmp_lt_i64_e32 vcc_lo, v[7:8], v[15:16]
	s_waitcnt lgkmcnt(0)
	v_readfirstlane_b32 s10, v4
	v_dual_cndmask_b32 v8, v16, v8 :: v_dual_cndmask_b32 v7, v15, v7
	s_delay_alu instid0(VALU_DEP_2) | instskip(SKIP_3) | instid1(SALU_CYCLE_1)
	s_bitcmp1_b32 s10, 0
	ds_bpermute_b32 v10, v21, v8
	ds_bpermute_b32 v9, v21, v7
	s_cselect_b32 s10, -1, 0
	s_and_b32 s21, s2, s10
	s_waitcnt lgkmcnt(0)
	v_cmp_lt_i64_e32 vcc_lo, v[9:10], v[7:8]
	v_dual_cndmask_b32 v8, v8, v10 :: v_dual_cndmask_b32 v7, v7, v9
	ds_bpermute_b32 v10, v19, v8
	ds_bpermute_b32 v9, v19, v7
	s_and_saveexec_b32 s10, s21
	s_cbranch_execz .LBB41_21
; %bb.20:                               ;   in Loop: Header=BB41_7 Depth=1
	ds_load_b64 v[7:8], v3 offset:2048
	s_waitcnt lgkmcnt(0)
	v_add_co_u32 v7, vcc_lo, v7, 1
	v_add_co_ci_u32_e32 v8, vcc_lo, 0, v8, vcc_lo
	ds_store_b64 v3, v[7:8] offset:2048
.LBB41_21:                              ;   in Loop: Header=BB41_7 Depth=1
	s_or_b32 exec_lo, exec_lo, s10
	ds_store_b64 v18, v[5:6]
	s_waitcnt lgkmcnt(0)
	s_barrier
	buffer_gl0_inv
	s_and_saveexec_b32 s10, s3
	s_cbranch_execz .LBB41_23
; %bb.22:                               ;   in Loop: Header=BB41_7 Depth=1
	ds_load_2addr_stride64_b64 v[4:7], v18 offset1:2
	s_waitcnt lgkmcnt(0)
	v_cmp_lt_i64_e32 vcc_lo, v[6:7], v[4:5]
	v_dual_cndmask_b32 v5, v5, v7 :: v_dual_cndmask_b32 v4, v4, v6
	ds_store_b64 v18, v[4:5]
.LBB41_23:                              ;   in Loop: Header=BB41_7 Depth=1
	s_or_b32 exec_lo, exec_lo, s10
	s_waitcnt lgkmcnt(0)
	s_barrier
	buffer_gl0_inv
	s_and_saveexec_b32 s10, s4
	s_cbranch_execz .LBB41_25
; %bb.24:                               ;   in Loop: Header=BB41_7 Depth=1
	ds_load_2addr_stride64_b64 v[4:7], v18 offset1:1
	s_waitcnt lgkmcnt(0)
	v_cmp_lt_i64_e32 vcc_lo, v[6:7], v[4:5]
	v_dual_cndmask_b32 v5, v5, v7 :: v_dual_cndmask_b32 v4, v4, v6
	ds_store_b64 v18, v[4:5]
.LBB41_25:                              ;   in Loop: Header=BB41_7 Depth=1
	s_or_b32 exec_lo, exec_lo, s10
	s_waitcnt lgkmcnt(0)
	s_barrier
	buffer_gl0_inv
	s_and_saveexec_b32 s10, s5
	s_cbranch_execz .LBB41_27
; %bb.26:                               ;   in Loop: Header=BB41_7 Depth=1
	ds_load_2addr_b64 v[4:7], v18 offset1:32
	s_waitcnt lgkmcnt(0)
	v_cmp_lt_i64_e32 vcc_lo, v[6:7], v[4:5]
	v_dual_cndmask_b32 v5, v5, v7 :: v_dual_cndmask_b32 v4, v4, v6
	ds_store_b64 v18, v[4:5]
.LBB41_27:                              ;   in Loop: Header=BB41_7 Depth=1
	s_or_b32 exec_lo, exec_lo, s10
	s_waitcnt lgkmcnt(0)
	s_barrier
	buffer_gl0_inv
	s_and_saveexec_b32 s10, s6
	s_cbranch_execz .LBB41_29
; %bb.28:                               ;   in Loop: Header=BB41_7 Depth=1
	ds_load_2addr_b64 v[4:7], v18 offset1:16
	s_waitcnt lgkmcnt(0)
	v_cmp_lt_i64_e32 vcc_lo, v[6:7], v[4:5]
	v_dual_cndmask_b32 v5, v5, v7 :: v_dual_cndmask_b32 v4, v4, v6
	ds_store_b64 v18, v[4:5]
.LBB41_29:                              ;   in Loop: Header=BB41_7 Depth=1
	;; [unrolled: 13-line block ×5, first 2 shown]
	s_or_b32 exec_lo, exec_lo, s10
	s_waitcnt lgkmcnt(0)
	s_barrier
	buffer_gl0_inv
	s_and_saveexec_b32 s10, s2
	s_cbranch_execz .LBB41_6
; %bb.36:                               ;   in Loop: Header=BB41_7 Depth=1
	ds_load_b128 v[4:7], v3
	s_waitcnt lgkmcnt(0)
	v_cmp_lt_i64_e32 vcc_lo, v[6:7], v[4:5]
	v_dual_cndmask_b32 v5, v5, v7 :: v_dual_cndmask_b32 v4, v4, v6
	ds_store_b64 v3, v[4:5]
	s_branch .LBB41_6
.LBB41_37:
	s_mov_b32 s2, exec_lo
	v_cmpx_eq_u32_e32 0, v0
	s_cbranch_execz .LBB41_39
; %bb.38:
	s_load_b32 s2, s[0:1], 0x40
	v_mov_b32_e32 v1, 0
	s_load_b64 s[0:1], s[0:1], 0x48
	s_waitcnt lgkmcnt(0)
	v_mov_b32_e32 v0, s2
	ds_load_b64 v[2:3], v1 offset:2048
	s_lshl_b64 s[2:3], s[16:17], 3
	s_delay_alu instid0(SALU_CYCLE_1)
	s_add_u32 s2, s0, s2
	s_addc_u32 s3, s1, s3
	global_store_b64 v1, v[0:1], s[0:1]
	s_waitcnt lgkmcnt(0)
	global_store_b64 v1, v[2:3], s[2:3] offset:8
.LBB41_39:
	s_nop 0
	s_sendmsg sendmsg(MSG_DEALLOC_VGPRS)
	s_endpgm
	.section	.rodata,"a",@progbits
	.p2align	6, 0x0
	.amdhsa_kernel _ZN9rocsparseL42csr2bsr_nnz_block_per_row_multipass_kernelILj256ELj64EllEEvT2_S1_S1_S1_S1_21rocsparse_index_base_PKT1_PKS1_S2_PS3_
		.amdhsa_group_segment_fixed_size 2064
		.amdhsa_private_segment_fixed_size 0
		.amdhsa_kernarg_size 80
		.amdhsa_user_sgpr_count 15
		.amdhsa_user_sgpr_dispatch_ptr 0
		.amdhsa_user_sgpr_queue_ptr 0
		.amdhsa_user_sgpr_kernarg_segment_ptr 1
		.amdhsa_user_sgpr_dispatch_id 0
		.amdhsa_user_sgpr_private_segment_size 0
		.amdhsa_wavefront_size32 1
		.amdhsa_uses_dynamic_stack 0
		.amdhsa_enable_private_segment 0
		.amdhsa_system_sgpr_workgroup_id_x 1
		.amdhsa_system_sgpr_workgroup_id_y 0
		.amdhsa_system_sgpr_workgroup_id_z 0
		.amdhsa_system_sgpr_workgroup_info 0
		.amdhsa_system_vgpr_workitem_id 0
		.amdhsa_next_free_vgpr 33
		.amdhsa_next_free_sgpr 27
		.amdhsa_reserve_vcc 1
		.amdhsa_float_round_mode_32 0
		.amdhsa_float_round_mode_16_64 0
		.amdhsa_float_denorm_mode_32 3
		.amdhsa_float_denorm_mode_16_64 3
		.amdhsa_dx10_clamp 1
		.amdhsa_ieee_mode 1
		.amdhsa_fp16_overflow 0
		.amdhsa_workgroup_processor_mode 1
		.amdhsa_memory_ordered 1
		.amdhsa_forward_progress 0
		.amdhsa_shared_vgpr_count 0
		.amdhsa_exception_fp_ieee_invalid_op 0
		.amdhsa_exception_fp_denorm_src 0
		.amdhsa_exception_fp_ieee_div_zero 0
		.amdhsa_exception_fp_ieee_overflow 0
		.amdhsa_exception_fp_ieee_underflow 0
		.amdhsa_exception_fp_ieee_inexact 0
		.amdhsa_exception_int_div_zero 0
	.end_amdhsa_kernel
	.section	.text._ZN9rocsparseL42csr2bsr_nnz_block_per_row_multipass_kernelILj256ELj64EllEEvT2_S1_S1_S1_S1_21rocsparse_index_base_PKT1_PKS1_S2_PS3_,"axG",@progbits,_ZN9rocsparseL42csr2bsr_nnz_block_per_row_multipass_kernelILj256ELj64EllEEvT2_S1_S1_S1_S1_21rocsparse_index_base_PKT1_PKS1_S2_PS3_,comdat
.Lfunc_end41:
	.size	_ZN9rocsparseL42csr2bsr_nnz_block_per_row_multipass_kernelILj256ELj64EllEEvT2_S1_S1_S1_S1_21rocsparse_index_base_PKT1_PKS1_S2_PS3_, .Lfunc_end41-_ZN9rocsparseL42csr2bsr_nnz_block_per_row_multipass_kernelILj256ELj64EllEEvT2_S1_S1_S1_S1_21rocsparse_index_base_PKT1_PKS1_S2_PS3_
                                        ; -- End function
	.section	.AMDGPU.csdata,"",@progbits
; Kernel info:
; codeLenInByte = 2564
; NumSgprs: 29
; NumVgprs: 33
; ScratchSize: 0
; MemoryBound: 0
; FloatMode: 240
; IeeeMode: 1
; LDSByteSize: 2064 bytes/workgroup (compile time only)
; SGPRBlocks: 3
; VGPRBlocks: 4
; NumSGPRsForWavesPerEU: 29
; NumVGPRsForWavesPerEU: 33
; Occupancy: 16
; WaveLimiterHint : 0
; COMPUTE_PGM_RSRC2:SCRATCH_EN: 0
; COMPUTE_PGM_RSRC2:USER_SGPR: 15
; COMPUTE_PGM_RSRC2:TRAP_HANDLER: 0
; COMPUTE_PGM_RSRC2:TGID_X_EN: 1
; COMPUTE_PGM_RSRC2:TGID_Y_EN: 0
; COMPUTE_PGM_RSRC2:TGID_Z_EN: 0
; COMPUTE_PGM_RSRC2:TIDIG_COMP_CNT: 0
	.section	.text._ZN9rocsparseL25csr2bsr_nnz_65_inf_kernelILj32EllEEvT1_S1_S1_S1_S1_S1_21rocsparse_index_base_PKT0_PKS1_S2_PS3_S8_,"axG",@progbits,_ZN9rocsparseL25csr2bsr_nnz_65_inf_kernelILj32EllEEvT1_S1_S1_S1_S1_S1_21rocsparse_index_base_PKT0_PKS1_S2_PS3_S8_,comdat
	.globl	_ZN9rocsparseL25csr2bsr_nnz_65_inf_kernelILj32EllEEvT1_S1_S1_S1_S1_S1_21rocsparse_index_base_PKT0_PKS1_S2_PS3_S8_ ; -- Begin function _ZN9rocsparseL25csr2bsr_nnz_65_inf_kernelILj32EllEEvT1_S1_S1_S1_S1_S1_21rocsparse_index_base_PKT0_PKS1_S2_PS3_S8_
	.p2align	8
	.type	_ZN9rocsparseL25csr2bsr_nnz_65_inf_kernelILj32EllEEvT1_S1_S1_S1_S1_S1_21rocsparse_index_base_PKT0_PKS1_S2_PS3_S8_,@function
_ZN9rocsparseL25csr2bsr_nnz_65_inf_kernelILj32EllEEvT1_S1_S1_S1_S1_S1_21rocsparse_index_base_PKT0_PKS1_S2_PS3_S8_: ; @_ZN9rocsparseL25csr2bsr_nnz_65_inf_kernelILj32EllEEvT1_S1_S1_S1_S1_S1_21rocsparse_index_base_PKT0_PKS1_S2_PS3_S8_
; %bb.0:
	s_clause 0x2
	s_load_b256 s[4:11], s[0:1], 0x10
	s_load_b64 s[2:3], s[0:1], 0x58
	s_load_b32 s24, s[0:1], 0x30
	s_mov_b32 s12, s15
	s_waitcnt lgkmcnt(0)
	v_mad_u64_u32 v[2:3], null, v0, s10, 0
	s_mul_i32 s13, s15, s11
	s_mul_hi_u32 s15, s15, s10
	s_mul_i32 s14, s12, s10
	s_add_i32 s15, s15, s13
	v_cmp_gt_i64_e64 s25, s[10:11], 0
	s_lshl_b64 s[14:15], s[14:15], 9
	s_delay_alu instid0(VALU_DEP_2)
	v_mov_b32_e32 v1, v3
	s_add_u32 s13, s2, s14
	s_addc_u32 s14, s3, s15
	s_lshl_b64 s[2:3], s[10:11], 8
	v_cmp_lt_i64_e64 s15, s[10:11], 1
	v_mad_u64_u32 v[3:4], null, v0, s11, v[1:2]
	s_add_u32 s2, s13, s2
	s_addc_u32 s3, s14, s3
	v_mov_b32_e32 v1, 0
	s_delay_alu instid0(VALU_DEP_2) | instskip(NEXT) | instid1(VALU_DEP_1)
	v_lshlrev_b64 v[4:5], 3, v[2:3]
	v_add_co_u32 v2, vcc_lo, s13, v4
	s_delay_alu instid0(VALU_DEP_2)
	v_add_co_ci_u32_e32 v3, vcc_lo, s14, v5, vcc_lo
	v_add_co_u32 v4, vcc_lo, s2, v4
	v_add_co_ci_u32_e32 v5, vcc_lo, s3, v5, vcc_lo
	s_and_b32 vcc_lo, exec_lo, s15
	s_mov_b32 s13, 0
	s_cbranch_vccnz .LBB42_5
; %bb.1:
	s_load_b64 s[16:17], s[0:1], 0x38
	s_mul_i32 s2, s12, s9
	s_mul_hi_u32 s14, s12, s8
	s_mul_i32 s3, s12, s8
	s_add_i32 s18, s14, s2
	s_load_b64 s[14:15], s[0:1], 0x0
	v_add_co_u32 v6, s2, s3, v0
	s_delay_alu instid0(VALU_DEP_1) | instskip(SKIP_3) | instid1(VALU_DEP_2)
	v_add_co_ci_u32_e64 v7, null, s18, 0, s2
	s_mov_b32 s20, s13
	s_mov_b32 s21, s13
	v_dual_mov_b32 v9, v3 :: v_dual_mov_b32 v8, v2
	v_lshlrev_b64 v[10:11], 3, v[6:7]
	v_dual_mov_b32 v7, v5 :: v_dual_mov_b32 v6, v4
	v_dual_mov_b32 v15, v1 :: v_dual_mov_b32 v14, v0
	s_waitcnt lgkmcnt(0)
	s_delay_alu instid0(VALU_DEP_3) | instskip(NEXT) | instid1(VALU_DEP_4)
	v_add_co_u32 v12, vcc_lo, v10, s16
	v_add_co_ci_u32_e32 v13, vcc_lo, s17, v11, vcc_lo
	v_dual_mov_b32 v10, s20 :: v_dual_mov_b32 v11, s21
	s_delay_alu instid0(VALU_DEP_3) | instskip(NEXT) | instid1(VALU_DEP_3)
	v_add_co_u32 v12, vcc_lo, v12, 8
	v_add_co_ci_u32_e32 v13, vcc_lo, 0, v13, vcc_lo
	s_mov_b64 s[16:17], s[10:11]
	s_set_inst_prefetch_distance 0x1
	s_branch .LBB42_3
	.p2align	6
.LBB42_2:                               ;   in Loop: Header=BB42_3 Depth=1
	s_or_b32 exec_lo, exec_lo, s2
	v_add_co_u32 v14, vcc_lo, v14, 32
	v_add_co_ci_u32_e32 v15, vcc_lo, 0, v15, vcc_lo
	v_add_co_u32 v8, vcc_lo, v8, 8
	v_add_co_ci_u32_e32 v9, vcc_lo, 0, v9, vcc_lo
	;; [unrolled: 2-line block ×3, first 2 shown]
	v_add_co_u32 v6, vcc_lo, v6, 8
	s_add_u32 s16, s16, -1
	v_add_co_ci_u32_e32 v7, vcc_lo, 0, v7, vcc_lo
	s_addc_u32 s17, s17, -1
	s_delay_alu instid0(SALU_CYCLE_1)
	s_cmp_eq_u64 s[16:17], 0
	s_cbranch_scc1 .LBB42_5
.LBB42_3:                               ; =>This Inner Loop Header: Depth=1
	v_add_co_u32 v16, vcc_lo, s3, v14
	v_add_co_ci_u32_e32 v17, vcc_lo, s18, v15, vcc_lo
	v_cmp_gt_i64_e64 s2, s[8:9], v[14:15]
	global_store_b64 v[8:9], v[10:11], off
	global_store_b64 v[6:7], v[10:11], off
	v_cmp_gt_i64_e32 vcc_lo, s[14:15], v[16:17]
	s_and_b32 s19, vcc_lo, s2
	s_delay_alu instid0(SALU_CYCLE_1)
	s_and_saveexec_b32 s2, s19
	s_cbranch_execz .LBB42_2
; %bb.4:                                ;   in Loop: Header=BB42_3 Depth=1
	global_load_b128 v[16:19], v[12:13], off offset:-8
	s_waitcnt vmcnt(0)
	v_sub_co_u32 v16, vcc_lo, v16, s24
	v_subrev_co_ci_u32_e32 v17, vcc_lo, 0, v17, vcc_lo
	v_sub_co_u32 v18, vcc_lo, v18, s24
	v_subrev_co_ci_u32_e32 v19, vcc_lo, 0, v19, vcc_lo
	global_store_b64 v[8:9], v[16:17], off
	global_store_b64 v[6:7], v[18:19], off
	s_branch .LBB42_2
.LBB42_5:
	s_set_inst_prefetch_distance 0x2
	s_load_b64 s[14:15], s[0:1], 0x50
	v_cmp_lt_i64_e64 s2, s[6:7], 1
	s_delay_alu instid0(VALU_DEP_1)
	s_and_b32 vcc_lo, exec_lo, s2
	v_cmp_eq_u32_e64 s2, 31, v0
	s_cbranch_vccnz .LBB42_24
; %bb.6:
	v_mbcnt_lo_u32_b32 v6, -1, 0
	v_cvt_f32_u32_e32 v1, s8
	s_load_b64 s[16:17], s[0:1], 0x40
	s_mov_b32 s26, 0
	s_ashr_i32 s18, s9, 31
	v_xor_b32_e32 v7, 16, v6
	v_xor_b32_e32 v8, 8, v6
	;; [unrolled: 1-line block ×3, first 2 shown]
	v_rcp_iflag_f32_e32 v12, v1
	v_xor_b32_e32 v10, 2, v6
	v_cmp_gt_i32_e32 vcc_lo, 32, v7
	v_xor_b32_e32 v11, 1, v6
	s_sub_i32 s27, 0, s8
	v_dual_mov_b32 v30, 0x7c :: v_dual_cndmask_b32 v1, v6, v7
	v_cmp_gt_i32_e32 vcc_lo, 32, v8
	v_cndmask_b32_e32 v7, v6, v8, vcc_lo
	v_cmp_gt_i32_e32 vcc_lo, 32, v9
	v_cndmask_b32_e32 v8, v6, v9, vcc_lo
	;; [unrolled: 2-line block ×3, first 2 shown]
	v_cmp_gt_i32_e32 vcc_lo, 32, v11
	s_delay_alu instid0(VALU_DEP_2)
	v_lshlrev_b32_e32 v28, 2, v9
	v_dual_cndmask_b32 v6, v6, v11 :: v_dual_lshlrev_b32 v1, 2, v1
	v_mov_b32_e32 v10, 0
	v_dual_mul_f32 v7, 0x4f7ffffe, v12 :: v_dual_lshlrev_b32 v26, 2, v7
	v_mov_b32_e32 v11, 0
	v_lshlrev_b32_e32 v27, 2, v8
	v_dual_mov_b32 v8, 0 :: v_dual_lshlrev_b32 v29, 2, v6
	s_delay_alu instid0(VALU_DEP_4) | instskip(NEXT) | instid1(VALU_DEP_4)
	v_cvt_u32_f32_e32 v31, v7
	v_dual_mov_b32 v6, v10 :: v_dual_mov_b32 v7, v11
	s_branch .LBB42_8
.LBB42_7:                               ;   in Loop: Header=BB42_8 Depth=1
	ds_bpermute_b32 v9, v1, v12
	ds_bpermute_b32 v10, v1, v13
	s_waitcnt lgkmcnt(0)
	v_cmp_lt_i64_e32 vcc_lo, v[9:10], v[12:13]
	v_dual_cndmask_b32 v10, v13, v10 :: v_dual_cndmask_b32 v9, v12, v9
	ds_bpermute_b32 v12, v26, v10
	ds_bpermute_b32 v11, v26, v9
	s_waitcnt lgkmcnt(0)
	v_cmp_lt_i64_e32 vcc_lo, v[11:12], v[9:10]
	v_dual_cndmask_b32 v10, v10, v12 :: v_dual_cndmask_b32 v9, v9, v11
	;; [unrolled: 5-line block ×5, first 2 shown]
	ds_bpermute_b32 v11, v30, v10
	ds_bpermute_b32 v10, v30, v9
	s_waitcnt lgkmcnt(0)
	v_cmp_gt_i64_e32 vcc_lo, s[6:7], v[10:11]
	v_add_co_u32 v10, s3, v10, 1
	s_delay_alu instid0(VALU_DEP_1) | instskip(SKIP_1) | instid1(SALU_CYCLE_1)
	v_add_co_ci_u32_e64 v11, s3, 0, v11, s3
	s_and_b32 s3, s2, vcc_lo
	v_cndmask_b32_e64 v9, 0, 1, s3
	s_delay_alu instid0(VALU_DEP_2) | instskip(NEXT) | instid1(VALU_DEP_2)
	v_cmp_le_i64_e32 vcc_lo, s[6:7], v[10:11]
	v_add_co_u32 v6, s3, v6, v9
	s_delay_alu instid0(VALU_DEP_1) | instskip(SKIP_1) | instid1(SALU_CYCLE_1)
	v_add_co_ci_u32_e64 v7, s3, 0, v7, s3
	s_or_b32 s26, vcc_lo, s26
	s_and_not1_b32 exec_lo, exec_lo, s26
	s_cbranch_execz .LBB42_23
.LBB42_8:                               ; =>This Loop Header: Depth=1
                                        ;     Child Loop BB42_12 Depth 2
                                        ;       Child Loop BB42_15 Depth 3
	v_dual_mov_b32 v13, s7 :: v_dual_mov_b32 v12, s6
	s_and_not1_b32 vcc_lo, exec_lo, s25
	s_cbranch_vccnz .LBB42_7
; %bb.9:                                ;   in Loop: Header=BB42_8 Depth=1
	v_dual_mov_b32 v13, s7 :: v_dual_mov_b32 v12, s6
	s_mov_b64 s[20:21], 0
	s_branch .LBB42_12
.LBB42_10:                              ;   in Loop: Header=BB42_12 Depth=2
	s_or_b32 exec_lo, exec_lo, s3
.LBB42_11:                              ;   in Loop: Header=BB42_12 Depth=2
	s_delay_alu instid0(SALU_CYCLE_1) | instskip(SKIP_2) | instid1(SALU_CYCLE_1)
	s_or_b32 exec_lo, exec_lo, s28
	s_add_u32 s20, s20, 1
	s_addc_u32 s21, s21, 0
	s_cmp_eq_u64 s[20:21], s[10:11]
	s_cbranch_scc1 .LBB42_7
.LBB42_12:                              ;   Parent Loop BB42_8 Depth=1
                                        ; =>  This Loop Header: Depth=2
                                        ;       Child Loop BB42_15 Depth 3
	s_lshl_b64 s[22:23], s[20:21], 3
	s_mov_b32 s28, exec_lo
	v_add_co_u32 v14, vcc_lo, v2, s22
	v_add_co_ci_u32_e32 v15, vcc_lo, s23, v3, vcc_lo
	v_add_co_u32 v16, vcc_lo, v4, s22
	v_add_co_ci_u32_e32 v17, vcc_lo, s23, v5, vcc_lo
	s_clause 0x1
	global_load_b64 v[24:25], v[14:15], off
	global_load_b64 v[16:17], v[16:17], off
	s_waitcnt vmcnt(0)
	v_cmpx_lt_i64_e64 v[24:25], v[16:17]
	s_cbranch_execz .LBB42_11
; %bb.13:                               ;   in Loop: Header=BB42_12 Depth=2
	v_lshlrev_b64 v[18:19], 3, v[24:25]
	s_mov_b32 s29, 0
                                        ; implicit-def: $sgpr30
                                        ; implicit-def: $sgpr31
	s_waitcnt lgkmcnt(0)
	s_delay_alu instid0(VALU_DEP_1) | instskip(NEXT) | instid1(VALU_DEP_2)
	v_add_co_u32 v18, vcc_lo, s16, v18
	v_add_co_ci_u32_e32 v19, vcc_lo, s17, v19, vcc_lo
	s_branch .LBB42_15
.LBB42_14:                              ;   in Loop: Header=BB42_15 Depth=3
	s_or_b32 exec_lo, exec_lo, s19
	s_delay_alu instid0(SALU_CYCLE_1) | instskip(NEXT) | instid1(SALU_CYCLE_1)
	s_and_b32 s3, exec_lo, s3
	s_or_b32 s29, s3, s29
	s_and_not1_b32 s3, s30, exec_lo
	s_and_b32 s19, s31, exec_lo
	s_delay_alu instid0(SALU_CYCLE_1)
	s_or_b32 s30, s3, s19
	s_and_not1_b32 exec_lo, exec_lo, s29
	s_cbranch_execz .LBB42_21
.LBB42_15:                              ;   Parent Loop BB42_8 Depth=1
                                        ;     Parent Loop BB42_12 Depth=2
                                        ; =>    This Inner Loop Header: Depth=3
	global_load_b64 v[20:21], v[18:19], off
                                        ; implicit-def: $vgpr22_vgpr23
	s_mov_b32 s3, exec_lo
	s_waitcnt vmcnt(0)
	v_sub_co_u32 v32, vcc_lo, v20, s24
	v_subrev_co_ci_u32_e32 v33, vcc_lo, 0, v21, vcc_lo
	v_dual_mov_b32 v20, v24 :: v_dual_mov_b32 v21, v25
	s_delay_alu instid0(VALU_DEP_2) | instskip(NEXT) | instid1(VALU_DEP_1)
	v_or_b32_e32 v9, s9, v33
	v_cmpx_ne_u64_e32 0, v[8:9]
	s_xor_b32 s33, exec_lo, s3
	s_cbranch_execz .LBB42_17
; %bb.16:                               ;   in Loop: Header=BB42_15 Depth=3
	s_add_u32 s22, s8, s18
	s_mov_b32 s19, s18
	s_addc_u32 s23, s9, s18
	s_delay_alu instid0(SALU_CYCLE_1) | instskip(NEXT) | instid1(SALU_CYCLE_1)
	s_xor_b64 s[22:23], s[22:23], s[18:19]
	v_cvt_f32_u32_e32 v9, s22
	v_cvt_f32_u32_e32 v22, s23
	s_sub_u32 s3, 0, s22
	s_subb_u32 s19, 0, s23
	s_delay_alu instid0(VALU_DEP_1) | instskip(NEXT) | instid1(VALU_DEP_1)
	v_fmac_f32_e32 v9, 0x4f800000, v22
	v_rcp_f32_e32 v9, v9
	s_waitcnt_depctr 0xfff
	v_mul_f32_e32 v9, 0x5f7ffffc, v9
	s_delay_alu instid0(VALU_DEP_1) | instskip(NEXT) | instid1(VALU_DEP_1)
	v_mul_f32_e32 v22, 0x2f800000, v9
	v_trunc_f32_e32 v22, v22
	s_delay_alu instid0(VALU_DEP_1) | instskip(SKIP_1) | instid1(VALU_DEP_2)
	v_fmac_f32_e32 v9, 0xcf800000, v22
	v_cvt_u32_f32_e32 v22, v22
	v_cvt_u32_f32_e32 v9, v9
	s_delay_alu instid0(VALU_DEP_2) | instskip(NEXT) | instid1(VALU_DEP_2)
	v_mul_lo_u32 v23, s3, v22
	v_mul_hi_u32 v24, s3, v9
	v_mul_lo_u32 v25, s19, v9
	s_delay_alu instid0(VALU_DEP_2) | instskip(SKIP_1) | instid1(VALU_DEP_2)
	v_add_nc_u32_e32 v23, v24, v23
	v_mul_lo_u32 v24, s3, v9
	v_add_nc_u32_e32 v23, v23, v25
	s_delay_alu instid0(VALU_DEP_2) | instskip(NEXT) | instid1(VALU_DEP_2)
	v_mul_hi_u32 v25, v9, v24
	v_mul_lo_u32 v34, v9, v23
	v_mul_hi_u32 v35, v9, v23
	v_mul_hi_u32 v36, v22, v24
	v_mul_lo_u32 v24, v22, v24
	v_mul_hi_u32 v37, v22, v23
	v_mul_lo_u32 v23, v22, v23
	v_add_co_u32 v25, vcc_lo, v25, v34
	v_add_co_ci_u32_e32 v34, vcc_lo, 0, v35, vcc_lo
	s_delay_alu instid0(VALU_DEP_2) | instskip(NEXT) | instid1(VALU_DEP_2)
	v_add_co_u32 v24, vcc_lo, v25, v24
	v_add_co_ci_u32_e32 v24, vcc_lo, v34, v36, vcc_lo
	v_add_co_ci_u32_e32 v25, vcc_lo, 0, v37, vcc_lo
	v_ashrrev_i32_e32 v36, 31, v33
	s_delay_alu instid0(VALU_DEP_3) | instskip(NEXT) | instid1(VALU_DEP_3)
	v_add_co_u32 v23, vcc_lo, v24, v23
	v_add_co_ci_u32_e32 v24, vcc_lo, 0, v25, vcc_lo
	s_delay_alu instid0(VALU_DEP_2) | instskip(NEXT) | instid1(VALU_DEP_2)
	v_add_co_u32 v9, vcc_lo, v9, v23
	v_add_co_ci_u32_e32 v22, vcc_lo, v22, v24, vcc_lo
	s_delay_alu instid0(VALU_DEP_2) | instskip(SKIP_1) | instid1(VALU_DEP_3)
	v_mul_hi_u32 v23, s3, v9
	v_mul_lo_u32 v25, s19, v9
	v_mul_lo_u32 v24, s3, v22
	s_delay_alu instid0(VALU_DEP_1) | instskip(SKIP_1) | instid1(VALU_DEP_2)
	v_add_nc_u32_e32 v23, v23, v24
	v_mul_lo_u32 v24, s3, v9
	v_add_nc_u32_e32 v23, v23, v25
	s_delay_alu instid0(VALU_DEP_2) | instskip(NEXT) | instid1(VALU_DEP_2)
	v_mul_hi_u32 v25, v9, v24
	v_mul_lo_u32 v34, v9, v23
	v_mul_hi_u32 v35, v9, v23
	v_mul_hi_u32 v37, v22, v24
	v_mul_lo_u32 v24, v22, v24
	v_mul_hi_u32 v38, v22, v23
	v_mul_lo_u32 v23, v22, v23
	v_add_co_u32 v25, vcc_lo, v25, v34
	v_add_co_ci_u32_e32 v34, vcc_lo, 0, v35, vcc_lo
	s_delay_alu instid0(VALU_DEP_2) | instskip(NEXT) | instid1(VALU_DEP_2)
	v_add_co_u32 v24, vcc_lo, v25, v24
	v_add_co_ci_u32_e32 v24, vcc_lo, v34, v37, vcc_lo
	v_add_co_ci_u32_e32 v25, vcc_lo, 0, v38, vcc_lo
	v_add_co_u32 v32, vcc_lo, v32, v36
	v_add_co_ci_u32_e32 v33, vcc_lo, v33, v36, vcc_lo
	s_delay_alu instid0(VALU_DEP_4) | instskip(NEXT) | instid1(VALU_DEP_4)
	v_add_co_u32 v23, vcc_lo, v24, v23
	v_add_co_ci_u32_e32 v24, vcc_lo, 0, v25, vcc_lo
	s_delay_alu instid0(VALU_DEP_4) | instskip(NEXT) | instid1(VALU_DEP_3)
	v_xor_b32_e32 v34, v32, v36
	v_add_co_u32 v9, vcc_lo, v9, v23
	s_delay_alu instid0(VALU_DEP_3) | instskip(SKIP_1) | instid1(VALU_DEP_3)
	v_add_co_ci_u32_e32 v35, vcc_lo, v22, v24, vcc_lo
	v_xor_b32_e32 v37, v33, v36
	v_mul_hi_u32 v38, v34, v9
	s_delay_alu instid0(VALU_DEP_3) | instskip(NEXT) | instid1(VALU_DEP_3)
	v_mad_u64_u32 v[22:23], null, v34, v35, 0
	v_mad_u64_u32 v[24:25], null, v37, v9, 0
	;; [unrolled: 1-line block ×3, first 2 shown]
	s_delay_alu instid0(VALU_DEP_3) | instskip(NEXT) | instid1(VALU_DEP_4)
	v_add_co_u32 v9, vcc_lo, v38, v22
	v_add_co_ci_u32_e32 v22, vcc_lo, 0, v23, vcc_lo
	s_delay_alu instid0(VALU_DEP_2) | instskip(NEXT) | instid1(VALU_DEP_2)
	v_add_co_u32 v9, vcc_lo, v9, v24
	v_add_co_ci_u32_e32 v9, vcc_lo, v22, v25, vcc_lo
	v_add_co_ci_u32_e32 v22, vcc_lo, 0, v33, vcc_lo
	s_delay_alu instid0(VALU_DEP_2) | instskip(NEXT) | instid1(VALU_DEP_2)
	v_add_co_u32 v9, vcc_lo, v9, v32
	v_add_co_ci_u32_e32 v24, vcc_lo, 0, v22, vcc_lo
	s_delay_alu instid0(VALU_DEP_2) | instskip(SKIP_1) | instid1(VALU_DEP_3)
	v_mul_lo_u32 v25, s23, v9
	v_mad_u64_u32 v[22:23], null, s22, v9, 0
	v_mul_lo_u32 v32, s22, v24
	s_delay_alu instid0(VALU_DEP_2) | instskip(NEXT) | instid1(VALU_DEP_2)
	v_sub_co_u32 v22, vcc_lo, v34, v22
	v_add3_u32 v23, v23, v32, v25
	s_delay_alu instid0(VALU_DEP_1) | instskip(NEXT) | instid1(VALU_DEP_1)
	v_sub_nc_u32_e32 v25, v37, v23
	v_subrev_co_ci_u32_e64 v25, s3, s23, v25, vcc_lo
	v_add_co_u32 v32, s3, v9, 2
	s_delay_alu instid0(VALU_DEP_1) | instskip(SKIP_3) | instid1(VALU_DEP_3)
	v_add_co_ci_u32_e64 v33, s3, 0, v24, s3
	v_sub_co_u32 v34, s3, v22, s22
	v_sub_co_ci_u32_e32 v23, vcc_lo, v37, v23, vcc_lo
	v_subrev_co_ci_u32_e64 v25, s3, 0, v25, s3
	v_cmp_le_u32_e32 vcc_lo, s22, v34
	s_delay_alu instid0(VALU_DEP_3) | instskip(SKIP_1) | instid1(VALU_DEP_4)
	v_cmp_eq_u32_e64 s3, s23, v23
	v_cndmask_b32_e64 v34, 0, -1, vcc_lo
	v_cmp_le_u32_e32 vcc_lo, s23, v25
	v_cndmask_b32_e64 v35, 0, -1, vcc_lo
	v_cmp_le_u32_e32 vcc_lo, s22, v22
	;; [unrolled: 2-line block ×3, first 2 shown]
	v_cndmask_b32_e64 v37, 0, -1, vcc_lo
	v_cmp_eq_u32_e32 vcc_lo, s23, v25
	s_delay_alu instid0(VALU_DEP_2) | instskip(SKIP_3) | instid1(VALU_DEP_3)
	v_cndmask_b32_e64 v22, v37, v22, s3
	v_cndmask_b32_e32 v25, v35, v34, vcc_lo
	v_add_co_u32 v34, vcc_lo, v9, 1
	v_add_co_ci_u32_e32 v35, vcc_lo, 0, v24, vcc_lo
	v_cmp_ne_u32_e32 vcc_lo, 0, v25
	s_delay_alu instid0(VALU_DEP_2) | instskip(NEXT) | instid1(VALU_DEP_4)
	v_cndmask_b32_e32 v23, v35, v33, vcc_lo
	v_cndmask_b32_e32 v25, v34, v32, vcc_lo
	v_cmp_ne_u32_e32 vcc_lo, 0, v22
	v_xor_b32_e32 v32, s18, v36
	s_delay_alu instid0(VALU_DEP_3) | instskip(NEXT) | instid1(VALU_DEP_1)
	v_dual_cndmask_b32 v9, v9, v25 :: v_dual_cndmask_b32 v22, v24, v23
	v_xor_b32_e32 v9, v9, v32
	s_delay_alu instid0(VALU_DEP_2) | instskip(NEXT) | instid1(VALU_DEP_2)
	v_xor_b32_e32 v23, v22, v32
	v_sub_co_u32 v22, vcc_lo, v9, v32
	s_delay_alu instid0(VALU_DEP_2)
	v_sub_co_ci_u32_e32 v23, vcc_lo, v23, v32, vcc_lo
                                        ; implicit-def: $vgpr32
.LBB42_17:                              ;   in Loop: Header=BB42_15 Depth=3
	s_and_not1_saveexec_b32 s3, s33
	s_cbranch_execz .LBB42_19
; %bb.18:                               ;   in Loop: Header=BB42_15 Depth=3
	v_mul_lo_u32 v9, s27, v31
	s_delay_alu instid0(VALU_DEP_1) | instskip(NEXT) | instid1(VALU_DEP_1)
	v_mul_hi_u32 v9, v31, v9
	v_add_nc_u32_e32 v9, v31, v9
	s_delay_alu instid0(VALU_DEP_1) | instskip(NEXT) | instid1(VALU_DEP_1)
	v_mul_hi_u32 v9, v32, v9
	v_mul_lo_u32 v22, v9, s8
	v_add_nc_u32_e32 v23, 1, v9
	s_delay_alu instid0(VALU_DEP_2) | instskip(NEXT) | instid1(VALU_DEP_1)
	v_sub_nc_u32_e32 v22, v32, v22
	v_subrev_nc_u32_e32 v24, s8, v22
	v_cmp_le_u32_e32 vcc_lo, s8, v22
	s_delay_alu instid0(VALU_DEP_2) | instskip(NEXT) | instid1(VALU_DEP_1)
	v_dual_cndmask_b32 v22, v22, v24 :: v_dual_cndmask_b32 v9, v9, v23
	v_cmp_le_u32_e32 vcc_lo, s8, v22
	s_delay_alu instid0(VALU_DEP_2) | instskip(NEXT) | instid1(VALU_DEP_1)
	v_add_nc_u32_e32 v23, 1, v9
	v_dual_cndmask_b32 v22, v9, v23 :: v_dual_mov_b32 v23, v8
.LBB42_19:                              ;   in Loop: Header=BB42_15 Depth=3
	s_or_b32 exec_lo, exec_lo, s3
	s_mov_b32 s3, -1
	s_or_b32 s31, s31, exec_lo
	s_mov_b32 s19, exec_lo
                                        ; implicit-def: $vgpr24_vgpr25
	v_cmpx_lt_i64_e64 v[22:23], v[10:11]
	s_cbranch_execz .LBB42_14
; %bb.20:                               ;   in Loop: Header=BB42_15 Depth=3
	v_add_co_u32 v24, vcc_lo, v20, 1
	v_add_co_ci_u32_e32 v25, vcc_lo, 0, v21, vcc_lo
	v_add_co_u32 v18, s3, v18, 8
	s_delay_alu instid0(VALU_DEP_1) | instskip(NEXT) | instid1(VALU_DEP_3)
	v_add_co_ci_u32_e64 v19, s3, 0, v19, s3
	v_cmp_ge_i64_e32 vcc_lo, v[24:25], v[16:17]
	s_and_not1_b32 s31, s31, exec_lo
	s_or_not1_b32 s3, vcc_lo, exec_lo
	s_branch .LBB42_14
.LBB42_21:                              ;   in Loop: Header=BB42_12 Depth=2
	s_or_b32 exec_lo, exec_lo, s29
	s_and_saveexec_b32 s3, s30
	s_delay_alu instid0(SALU_CYCLE_1)
	s_xor_b32 s3, exec_lo, s3
	s_cbranch_execz .LBB42_10
; %bb.22:                               ;   in Loop: Header=BB42_12 Depth=2
	v_cmp_lt_i64_e32 vcc_lo, v[22:23], v[12:13]
	global_store_b64 v[14:15], v[20:21], off
	v_dual_cndmask_b32 v13, v13, v23 :: v_dual_cndmask_b32 v12, v12, v22
	s_branch .LBB42_10
.LBB42_23:
	s_or_b32 exec_lo, exec_lo, s26
	s_branch .LBB42_25
.LBB42_24:
	v_mov_b32_e32 v6, 0
	v_mov_b32_e32 v7, 0
.LBB42_25:
	v_cmp_lt_i64_e64 s2, s[12:13], s[4:5]
	v_cmp_eq_u32_e32 vcc_lo, 31, v0
	s_delay_alu instid0(VALU_DEP_2) | instskip(NEXT) | instid1(SALU_CYCLE_1)
	s_and_b32 s2, vcc_lo, s2
	s_and_saveexec_b32 s3, s2
	s_cbranch_execz .LBB42_27
; %bb.26:
	s_load_b32 s0, s[0:1], 0x48
	s_waitcnt lgkmcnt(0)
	v_dual_mov_b32 v1, 0 :: v_dual_mov_b32 v0, s0
	s_lshl_b64 s[0:1], s[12:13], 3
	s_delay_alu instid0(SALU_CYCLE_1)
	s_add_u32 s0, s14, s0
	s_addc_u32 s1, s15, s1
	s_clause 0x1
	global_store_b64 v1, v[0:1], s[14:15]
	global_store_b64 v1, v[6:7], s[0:1] offset:8
.LBB42_27:
	s_nop 0
	s_sendmsg sendmsg(MSG_DEALLOC_VGPRS)
	s_endpgm
	.section	.rodata,"a",@progbits
	.p2align	6, 0x0
	.amdhsa_kernel _ZN9rocsparseL25csr2bsr_nnz_65_inf_kernelILj32EllEEvT1_S1_S1_S1_S1_S1_21rocsparse_index_base_PKT0_PKS1_S2_PS3_S8_
		.amdhsa_group_segment_fixed_size 0
		.amdhsa_private_segment_fixed_size 0
		.amdhsa_kernarg_size 96
		.amdhsa_user_sgpr_count 15
		.amdhsa_user_sgpr_dispatch_ptr 0
		.amdhsa_user_sgpr_queue_ptr 0
		.amdhsa_user_sgpr_kernarg_segment_ptr 1
		.amdhsa_user_sgpr_dispatch_id 0
		.amdhsa_user_sgpr_private_segment_size 0
		.amdhsa_wavefront_size32 1
		.amdhsa_uses_dynamic_stack 0
		.amdhsa_enable_private_segment 0
		.amdhsa_system_sgpr_workgroup_id_x 1
		.amdhsa_system_sgpr_workgroup_id_y 0
		.amdhsa_system_sgpr_workgroup_id_z 0
		.amdhsa_system_sgpr_workgroup_info 0
		.amdhsa_system_vgpr_workitem_id 0
		.amdhsa_next_free_vgpr 39
		.amdhsa_next_free_sgpr 34
		.amdhsa_reserve_vcc 1
		.amdhsa_float_round_mode_32 0
		.amdhsa_float_round_mode_16_64 0
		.amdhsa_float_denorm_mode_32 3
		.amdhsa_float_denorm_mode_16_64 3
		.amdhsa_dx10_clamp 1
		.amdhsa_ieee_mode 1
		.amdhsa_fp16_overflow 0
		.amdhsa_workgroup_processor_mode 1
		.amdhsa_memory_ordered 1
		.amdhsa_forward_progress 0
		.amdhsa_shared_vgpr_count 0
		.amdhsa_exception_fp_ieee_invalid_op 0
		.amdhsa_exception_fp_denorm_src 0
		.amdhsa_exception_fp_ieee_div_zero 0
		.amdhsa_exception_fp_ieee_overflow 0
		.amdhsa_exception_fp_ieee_underflow 0
		.amdhsa_exception_fp_ieee_inexact 0
		.amdhsa_exception_int_div_zero 0
	.end_amdhsa_kernel
	.section	.text._ZN9rocsparseL25csr2bsr_nnz_65_inf_kernelILj32EllEEvT1_S1_S1_S1_S1_S1_21rocsparse_index_base_PKT0_PKS1_S2_PS3_S8_,"axG",@progbits,_ZN9rocsparseL25csr2bsr_nnz_65_inf_kernelILj32EllEEvT1_S1_S1_S1_S1_S1_21rocsparse_index_base_PKT0_PKS1_S2_PS3_S8_,comdat
.Lfunc_end42:
	.size	_ZN9rocsparseL25csr2bsr_nnz_65_inf_kernelILj32EllEEvT1_S1_S1_S1_S1_S1_21rocsparse_index_base_PKT0_PKS1_S2_PS3_S8_, .Lfunc_end42-_ZN9rocsparseL25csr2bsr_nnz_65_inf_kernelILj32EllEEvT1_S1_S1_S1_S1_S1_21rocsparse_index_base_PKT0_PKS1_S2_PS3_S8_
                                        ; -- End function
	.section	.AMDGPU.csdata,"",@progbits
; Kernel info:
; codeLenInByte = 2388
; NumSgprs: 36
; NumVgprs: 39
; ScratchSize: 0
; MemoryBound: 0
; FloatMode: 240
; IeeeMode: 1
; LDSByteSize: 0 bytes/workgroup (compile time only)
; SGPRBlocks: 4
; VGPRBlocks: 4
; NumSGPRsForWavesPerEU: 36
; NumVGPRsForWavesPerEU: 39
; Occupancy: 16
; WaveLimiterHint : 0
; COMPUTE_PGM_RSRC2:SCRATCH_EN: 0
; COMPUTE_PGM_RSRC2:USER_SGPR: 15
; COMPUTE_PGM_RSRC2:TRAP_HANDLER: 0
; COMPUTE_PGM_RSRC2:TGID_X_EN: 1
; COMPUTE_PGM_RSRC2:TGID_Y_EN: 0
; COMPUTE_PGM_RSRC2:TGID_Z_EN: 0
; COMPUTE_PGM_RSRC2:TIDIG_COMP_CNT: 0
	.section	.text._ZN9rocsparseL36csr2bsr_nnz_compute_nnz_total_kernelILj1EllEEvT1_PKT0_PS2_,"axG",@progbits,_ZN9rocsparseL36csr2bsr_nnz_compute_nnz_total_kernelILj1EllEEvT1_PKT0_PS2_,comdat
	.globl	_ZN9rocsparseL36csr2bsr_nnz_compute_nnz_total_kernelILj1EllEEvT1_PKT0_PS2_ ; -- Begin function _ZN9rocsparseL36csr2bsr_nnz_compute_nnz_total_kernelILj1EllEEvT1_PKT0_PS2_
	.p2align	8
	.type	_ZN9rocsparseL36csr2bsr_nnz_compute_nnz_total_kernelILj1EllEEvT1_PKT0_PS2_,@function
_ZN9rocsparseL36csr2bsr_nnz_compute_nnz_total_kernelILj1EllEEvT1_PKT0_PS2_: ; @_ZN9rocsparseL36csr2bsr_nnz_compute_nnz_total_kernelILj1EllEEvT1_PKT0_PS2_
; %bb.0:
	s_sub_i32 s2, 0, s15
	s_delay_alu instid0(SALU_CYCLE_1)
	s_cmp_lg_u32 s2, 0
	s_cbranch_scc1 .LBB43_2
; %bb.1:
	s_clause 0x1
	s_load_b128 s[4:7], s[0:1], 0x0
	s_load_b64 s[0:1], s[0:1], 0x10
	s_waitcnt lgkmcnt(0)
	s_lshl_b64 s[2:3], s[4:5], 3
	s_delay_alu instid0(SALU_CYCLE_1)
	s_add_u32 s2, s6, s2
	s_addc_u32 s3, s7, s3
	s_clause 0x1
	s_load_b64 s[2:3], s[2:3], 0x0
	s_load_b64 s[4:5], s[6:7], 0x0
	s_waitcnt lgkmcnt(0)
	s_sub_u32 s2, s2, s4
	s_subb_u32 s3, s3, s5
	v_mov_b32_e32 v0, s2
	v_dual_mov_b32 v2, 0 :: v_dual_mov_b32 v1, s3
	global_store_b64 v2, v[0:1], s[0:1]
.LBB43_2:
	s_nop 0
	s_sendmsg sendmsg(MSG_DEALLOC_VGPRS)
	s_endpgm
	.section	.rodata,"a",@progbits
	.p2align	6, 0x0
	.amdhsa_kernel _ZN9rocsparseL36csr2bsr_nnz_compute_nnz_total_kernelILj1EllEEvT1_PKT0_PS2_
		.amdhsa_group_segment_fixed_size 0
		.amdhsa_private_segment_fixed_size 0
		.amdhsa_kernarg_size 24
		.amdhsa_user_sgpr_count 15
		.amdhsa_user_sgpr_dispatch_ptr 0
		.amdhsa_user_sgpr_queue_ptr 0
		.amdhsa_user_sgpr_kernarg_segment_ptr 1
		.amdhsa_user_sgpr_dispatch_id 0
		.amdhsa_user_sgpr_private_segment_size 0
		.amdhsa_wavefront_size32 1
		.amdhsa_uses_dynamic_stack 0
		.amdhsa_enable_private_segment 0
		.amdhsa_system_sgpr_workgroup_id_x 1
		.amdhsa_system_sgpr_workgroup_id_y 0
		.amdhsa_system_sgpr_workgroup_id_z 0
		.amdhsa_system_sgpr_workgroup_info 0
		.amdhsa_system_vgpr_workitem_id 0
		.amdhsa_next_free_vgpr 3
		.amdhsa_next_free_sgpr 16
		.amdhsa_reserve_vcc 0
		.amdhsa_float_round_mode_32 0
		.amdhsa_float_round_mode_16_64 0
		.amdhsa_float_denorm_mode_32 3
		.amdhsa_float_denorm_mode_16_64 3
		.amdhsa_dx10_clamp 1
		.amdhsa_ieee_mode 1
		.amdhsa_fp16_overflow 0
		.amdhsa_workgroup_processor_mode 1
		.amdhsa_memory_ordered 1
		.amdhsa_forward_progress 0
		.amdhsa_shared_vgpr_count 0
		.amdhsa_exception_fp_ieee_invalid_op 0
		.amdhsa_exception_fp_denorm_src 0
		.amdhsa_exception_fp_ieee_div_zero 0
		.amdhsa_exception_fp_ieee_overflow 0
		.amdhsa_exception_fp_ieee_underflow 0
		.amdhsa_exception_fp_ieee_inexact 0
		.amdhsa_exception_int_div_zero 0
	.end_amdhsa_kernel
	.section	.text._ZN9rocsparseL36csr2bsr_nnz_compute_nnz_total_kernelILj1EllEEvT1_PKT0_PS2_,"axG",@progbits,_ZN9rocsparseL36csr2bsr_nnz_compute_nnz_total_kernelILj1EllEEvT1_PKT0_PS2_,comdat
.Lfunc_end43:
	.size	_ZN9rocsparseL36csr2bsr_nnz_compute_nnz_total_kernelILj1EllEEvT1_PKT0_PS2_, .Lfunc_end43-_ZN9rocsparseL36csr2bsr_nnz_compute_nnz_total_kernelILj1EllEEvT1_PKT0_PS2_
                                        ; -- End function
	.section	.AMDGPU.csdata,"",@progbits
; Kernel info:
; codeLenInByte = 120
; NumSgprs: 16
; NumVgprs: 3
; ScratchSize: 0
; MemoryBound: 0
; FloatMode: 240
; IeeeMode: 1
; LDSByteSize: 0 bytes/workgroup (compile time only)
; SGPRBlocks: 1
; VGPRBlocks: 0
; NumSGPRsForWavesPerEU: 16
; NumVGPRsForWavesPerEU: 3
; Occupancy: 16
; WaveLimiterHint : 0
; COMPUTE_PGM_RSRC2:SCRATCH_EN: 0
; COMPUTE_PGM_RSRC2:USER_SGPR: 15
; COMPUTE_PGM_RSRC2:TRAP_HANDLER: 0
; COMPUTE_PGM_RSRC2:TGID_X_EN: 1
; COMPUTE_PGM_RSRC2:TGID_Y_EN: 0
; COMPUTE_PGM_RSRC2:TGID_Z_EN: 0
; COMPUTE_PGM_RSRC2:TIDIG_COMP_CNT: 0
	.text
	.p2alignl 7, 3214868480
	.fill 96, 4, 3214868480
	.type	__hip_cuid_5c3a5443776a29e5,@object ; @__hip_cuid_5c3a5443776a29e5
	.section	.bss,"aw",@nobits
	.globl	__hip_cuid_5c3a5443776a29e5
__hip_cuid_5c3a5443776a29e5:
	.byte	0                               ; 0x0
	.size	__hip_cuid_5c3a5443776a29e5, 1

	.ident	"AMD clang version 19.0.0git (https://github.com/RadeonOpenCompute/llvm-project roc-6.4.0 25133 c7fe45cf4b819c5991fe208aaa96edf142730f1d)"
	.section	".note.GNU-stack","",@progbits
	.addrsig
	.addrsig_sym __hip_cuid_5c3a5443776a29e5
	.amdgpu_metadata
---
amdhsa.kernels:
  - .args:
      - .offset:         0
        .size:           4
        .value_kind:     by_value
      - .offset:         4
        .size:           4
        .value_kind:     by_value
      - .actual_access:  read_only
        .address_space:  global
        .offset:         8
        .size:           8
        .value_kind:     global_buffer
      - .offset:         16
        .size:           4
        .value_kind:     by_value
      - .actual_access:  write_only
        .address_space:  global
        .offset:         24
        .size:           8
        .value_kind:     global_buffer
      - .actual_access:  write_only
        .address_space:  global
        .offset:         32
        .size:           8
        .value_kind:     global_buffer
      - .offset:         40
        .size:           4
        .value_kind:     hidden_block_count_x
      - .offset:         44
        .size:           4
        .value_kind:     hidden_block_count_y
      - .offset:         48
        .size:           4
        .value_kind:     hidden_block_count_z
      - .offset:         52
        .size:           2
        .value_kind:     hidden_group_size_x
      - .offset:         54
        .size:           2
        .value_kind:     hidden_group_size_y
      - .offset:         56
        .size:           2
        .value_kind:     hidden_group_size_z
      - .offset:         58
        .size:           2
        .value_kind:     hidden_remainder_x
      - .offset:         60
        .size:           2
        .value_kind:     hidden_remainder_y
      - .offset:         62
        .size:           2
        .value_kind:     hidden_remainder_z
      - .offset:         80
        .size:           8
        .value_kind:     hidden_global_offset_x
      - .offset:         88
        .size:           8
        .value_kind:     hidden_global_offset_y
      - .offset:         96
        .size:           8
        .value_kind:     hidden_global_offset_z
      - .offset:         104
        .size:           2
        .value_kind:     hidden_grid_dims
    .group_segment_fixed_size: 0
    .kernarg_segment_align: 8
    .kernarg_segment_size: 296
    .language:       OpenCL C
    .language_version:
      - 2
      - 0
    .max_flat_workgroup_size: 256
    .name:           _ZN9rocsparseL39csr2bsr_nnz_block_dim_equals_one_kernelILj256EiiEEvT1_21rocsparse_index_base_PKT0_S2_PS3_S6_
    .private_segment_fixed_size: 0
    .sgpr_count:     18
    .sgpr_spill_count: 0
    .symbol:         _ZN9rocsparseL39csr2bsr_nnz_block_dim_equals_one_kernelILj256EiiEEvT1_21rocsparse_index_base_PKT0_S2_PS3_S6_.kd
    .uniform_work_group_size: 1
    .uses_dynamic_stack: false
    .vgpr_count:     6
    .vgpr_spill_count: 0
    .wavefront_size: 32
    .workgroup_processor_mode: 1
  - .args:
      - .offset:         0
        .size:           4
        .value_kind:     by_value
      - .offset:         4
        .size:           4
        .value_kind:     by_value
      - .actual_access:  read_only
        .address_space:  global
        .offset:         8
        .size:           8
        .value_kind:     global_buffer
      - .offset:         16
        .size:           4
        .value_kind:     by_value
      - .actual_access:  write_only
        .address_space:  global
        .offset:         24
        .size:           8
        .value_kind:     global_buffer
    .group_segment_fixed_size: 0
    .kernarg_segment_align: 8
    .kernarg_segment_size: 32
    .language:       OpenCL C
    .language_version:
      - 2
      - 0
    .max_flat_workgroup_size: 256
    .name:           _ZN9rocsparseL39csr2bsr_nnz_block_dim_equals_one_kernelILj256EiiEEvT1_21rocsparse_index_base_PKT0_S2_PS3_
    .private_segment_fixed_size: 0
    .sgpr_count:     18
    .sgpr_spill_count: 0
    .symbol:         _ZN9rocsparseL39csr2bsr_nnz_block_dim_equals_one_kernelILj256EiiEEvT1_21rocsparse_index_base_PKT0_S2_PS3_.kd
    .uniform_work_group_size: 1
    .uses_dynamic_stack: false
    .vgpr_count:     4
    .vgpr_spill_count: 0
    .wavefront_size: 32
    .workgroup_processor_mode: 1
  - .args:
      - .offset:         0
        .size:           4
        .value_kind:     by_value
      - .offset:         4
        .size:           4
        .value_kind:     by_value
      - .offset:         8
        .size:           4
        .value_kind:     by_value
      - .offset:         12
        .size:           4
        .value_kind:     by_value
      - .offset:         16
        .size:           4
        .value_kind:     by_value
      - .offset:         20
        .size:           4
        .value_kind:     by_value
      - .actual_access:  read_only
        .address_space:  global
        .offset:         24
        .size:           8
        .value_kind:     global_buffer
      - .actual_access:  read_only
        .address_space:  global
        .offset:         32
        .size:           8
        .value_kind:     global_buffer
      - .offset:         40
        .size:           4
        .value_kind:     by_value
      - .actual_access:  write_only
        .address_space:  global
        .offset:         48
        .size:           8
        .value_kind:     global_buffer
    .group_segment_fixed_size: 80
    .kernarg_segment_align: 8
    .kernarg_segment_size: 56
    .language:       OpenCL C
    .language_version:
      - 2
      - 0
    .max_flat_workgroup_size: 256
    .name:           _ZN9rocsparseL46csr2bsr_nnz_wavefront_per_row_multipass_kernelILj256ELj16ELj4EiiEEvT3_S1_S1_S1_S1_21rocsparse_index_base_PKT2_PKS1_S2_PS3_
    .private_segment_fixed_size: 0
    .sgpr_count:     18
    .sgpr_spill_count: 0
    .symbol:         _ZN9rocsparseL46csr2bsr_nnz_wavefront_per_row_multipass_kernelILj256ELj16ELj4EiiEEvT3_S1_S1_S1_S1_21rocsparse_index_base_PKT2_PKS1_S2_PS3_.kd
    .uniform_work_group_size: 1
    .uses_dynamic_stack: false
    .vgpr_count:     24
    .vgpr_spill_count: 0
    .wavefront_size: 32
    .workgroup_processor_mode: 1
  - .args:
      - .offset:         0
        .size:           4
        .value_kind:     by_value
      - .offset:         4
        .size:           4
        .value_kind:     by_value
      - .offset:         8
        .size:           4
        .value_kind:     by_value
      - .offset:         12
        .size:           4
        .value_kind:     by_value
      - .offset:         16
        .size:           4
        .value_kind:     by_value
      - .offset:         20
        .size:           4
        .value_kind:     by_value
      - .actual_access:  read_only
        .address_space:  global
        .offset:         24
        .size:           8
        .value_kind:     global_buffer
      - .actual_access:  read_only
        .address_space:  global
        .offset:         32
        .size:           8
        .value_kind:     global_buffer
      - .offset:         40
        .size:           4
        .value_kind:     by_value
      - .actual_access:  write_only
        .address_space:  global
        .offset:         48
        .size:           8
        .value_kind:     global_buffer
    .group_segment_fixed_size: 20
    .kernarg_segment_align: 8
    .kernarg_segment_size: 56
    .language:       OpenCL C
    .language_version:
      - 2
      - 0
    .max_flat_workgroup_size: 256
    .name:           _ZN9rocsparseL46csr2bsr_nnz_wavefront_per_row_multipass_kernelILj256ELj64ELj8EiiEEvT3_S1_S1_S1_S1_21rocsparse_index_base_PKT2_PKS1_S2_PS3_
    .private_segment_fixed_size: 0
    .sgpr_count:     18
    .sgpr_spill_count: 0
    .symbol:         _ZN9rocsparseL46csr2bsr_nnz_wavefront_per_row_multipass_kernelILj256ELj64ELj8EiiEEvT3_S1_S1_S1_S1_21rocsparse_index_base_PKT2_PKS1_S2_PS3_.kd
    .uniform_work_group_size: 1
    .uses_dynamic_stack: false
    .vgpr_count:     26
    .vgpr_spill_count: 0
    .wavefront_size: 32
    .workgroup_processor_mode: 1
  - .args:
      - .offset:         0
        .size:           4
        .value_kind:     by_value
      - .offset:         4
        .size:           4
        .value_kind:     by_value
      - .offset:         8
        .size:           4
        .value_kind:     by_value
      - .offset:         12
        .size:           4
        .value_kind:     by_value
      - .offset:         16
        .size:           4
        .value_kind:     by_value
      - .offset:         20
        .size:           4
        .value_kind:     by_value
      - .actual_access:  read_only
        .address_space:  global
        .offset:         24
        .size:           8
        .value_kind:     global_buffer
      - .actual_access:  read_only
        .address_space:  global
        .offset:         32
        .size:           8
        .value_kind:     global_buffer
      - .offset:         40
        .size:           4
        .value_kind:     by_value
      - .actual_access:  write_only
        .address_space:  global
        .offset:         48
        .size:           8
        .value_kind:     global_buffer
    .group_segment_fixed_size: 40
    .kernarg_segment_align: 8
    .kernarg_segment_size: 56
    .language:       OpenCL C
    .language_version:
      - 2
      - 0
    .max_flat_workgroup_size: 256
    .name:           _ZN9rocsparseL46csr2bsr_nnz_wavefront_per_row_multipass_kernelILj256ELj32ELj8EiiEEvT3_S1_S1_S1_S1_21rocsparse_index_base_PKT2_PKS1_S2_PS3_
    .private_segment_fixed_size: 0
    .sgpr_count:     18
    .sgpr_spill_count: 0
    .symbol:         _ZN9rocsparseL46csr2bsr_nnz_wavefront_per_row_multipass_kernelILj256ELj32ELj8EiiEEvT3_S1_S1_S1_S1_21rocsparse_index_base_PKT2_PKS1_S2_PS3_.kd
    .uniform_work_group_size: 1
    .uses_dynamic_stack: false
    .vgpr_count:     25
    .vgpr_spill_count: 0
    .wavefront_size: 32
    .workgroup_processor_mode: 1
  - .args:
      - .offset:         0
        .size:           4
        .value_kind:     by_value
      - .offset:         4
        .size:           4
        .value_kind:     by_value
      - .offset:         8
        .size:           4
        .value_kind:     by_value
      - .offset:         12
        .size:           4
        .value_kind:     by_value
      - .offset:         16
        .size:           4
        .value_kind:     by_value
      - .offset:         20
        .size:           4
        .value_kind:     by_value
      - .actual_access:  read_only
        .address_space:  global
        .offset:         24
        .size:           8
        .value_kind:     global_buffer
      - .actual_access:  read_only
        .address_space:  global
        .offset:         32
        .size:           8
        .value_kind:     global_buffer
      - .offset:         40
        .size:           4
        .value_kind:     by_value
      - .actual_access:  write_only
        .address_space:  global
        .offset:         48
        .size:           8
        .value_kind:     global_buffer
    .group_segment_fixed_size: 20
    .kernarg_segment_align: 8
    .kernarg_segment_size: 56
    .language:       OpenCL C
    .language_version:
      - 2
      - 0
    .max_flat_workgroup_size: 256
    .name:           _ZN9rocsparseL46csr2bsr_nnz_wavefront_per_row_multipass_kernelILj256ELj64ELj16EiiEEvT3_S1_S1_S1_S1_21rocsparse_index_base_PKT2_PKS1_S2_PS3_
    .private_segment_fixed_size: 0
    .sgpr_count:     18
    .sgpr_spill_count: 0
    .symbol:         _ZN9rocsparseL46csr2bsr_nnz_wavefront_per_row_multipass_kernelILj256ELj64ELj16EiiEEvT3_S1_S1_S1_S1_21rocsparse_index_base_PKT2_PKS1_S2_PS3_.kd
    .uniform_work_group_size: 1
    .uses_dynamic_stack: false
    .vgpr_count:     26
    .vgpr_spill_count: 0
    .wavefront_size: 32
    .workgroup_processor_mode: 1
  - .args:
      - .offset:         0
        .size:           4
        .value_kind:     by_value
      - .offset:         4
        .size:           4
        .value_kind:     by_value
      - .offset:         8
        .size:           4
        .value_kind:     by_value
      - .offset:         12
        .size:           4
        .value_kind:     by_value
      - .offset:         16
        .size:           4
        .value_kind:     by_value
      - .offset:         20
        .size:           4
        .value_kind:     by_value
      - .actual_access:  read_only
        .address_space:  global
        .offset:         24
        .size:           8
        .value_kind:     global_buffer
      - .actual_access:  read_only
        .address_space:  global
        .offset:         32
        .size:           8
        .value_kind:     global_buffer
      - .offset:         40
        .size:           4
        .value_kind:     by_value
      - .actual_access:  write_only
        .address_space:  global
        .offset:         48
        .size:           8
        .value_kind:     global_buffer
    .group_segment_fixed_size: 40
    .kernarg_segment_align: 8
    .kernarg_segment_size: 56
    .language:       OpenCL C
    .language_version:
      - 2
      - 0
    .max_flat_workgroup_size: 256
    .name:           _ZN9rocsparseL46csr2bsr_nnz_wavefront_per_row_multipass_kernelILj256ELj32ELj16EiiEEvT3_S1_S1_S1_S1_21rocsparse_index_base_PKT2_PKS1_S2_PS3_
    .private_segment_fixed_size: 0
    .sgpr_count:     18
    .sgpr_spill_count: 0
    .symbol:         _ZN9rocsparseL46csr2bsr_nnz_wavefront_per_row_multipass_kernelILj256ELj32ELj16EiiEEvT3_S1_S1_S1_S1_21rocsparse_index_base_PKT2_PKS1_S2_PS3_.kd
    .uniform_work_group_size: 1
    .uses_dynamic_stack: false
    .vgpr_count:     25
    .vgpr_spill_count: 0
    .wavefront_size: 32
    .workgroup_processor_mode: 1
  - .args:
      - .offset:         0
        .size:           4
        .value_kind:     by_value
      - .offset:         4
        .size:           4
        .value_kind:     by_value
      - .offset:         8
        .size:           4
        .value_kind:     by_value
      - .offset:         12
        .size:           4
        .value_kind:     by_value
      - .offset:         16
        .size:           4
        .value_kind:     by_value
      - .offset:         20
        .size:           4
        .value_kind:     by_value
      - .actual_access:  read_only
        .address_space:  global
        .offset:         24
        .size:           8
        .value_kind:     global_buffer
      - .actual_access:  read_only
        .address_space:  global
        .offset:         32
        .size:           8
        .value_kind:     global_buffer
      - .offset:         40
        .size:           4
        .value_kind:     by_value
      - .actual_access:  write_only
        .address_space:  global
        .offset:         48
        .size:           8
        .value_kind:     global_buffer
    .group_segment_fixed_size: 1032
    .kernarg_segment_align: 8
    .kernarg_segment_size: 56
    .language:       OpenCL C
    .language_version:
      - 2
      - 0
    .max_flat_workgroup_size: 256
    .name:           _ZN9rocsparseL42csr2bsr_nnz_block_per_row_multipass_kernelILj256ELj32EiiEEvT2_S1_S1_S1_S1_21rocsparse_index_base_PKT1_PKS1_S2_PS3_
    .private_segment_fixed_size: 0
    .sgpr_count:     23
    .sgpr_spill_count: 0
    .symbol:         _ZN9rocsparseL42csr2bsr_nnz_block_per_row_multipass_kernelILj256ELj32EiiEEvT2_S1_S1_S1_S1_21rocsparse_index_base_PKT1_PKS1_S2_PS3_.kd
    .uniform_work_group_size: 1
    .uses_dynamic_stack: false
    .vgpr_count:     20
    .vgpr_spill_count: 0
    .wavefront_size: 32
    .workgroup_processor_mode: 1
  - .args:
      - .offset:         0
        .size:           4
        .value_kind:     by_value
      - .offset:         4
        .size:           4
        .value_kind:     by_value
      - .offset:         8
        .size:           4
        .value_kind:     by_value
      - .offset:         12
        .size:           4
        .value_kind:     by_value
      - .offset:         16
        .size:           4
        .value_kind:     by_value
      - .offset:         20
        .size:           4
        .value_kind:     by_value
      - .actual_access:  read_only
        .address_space:  global
        .offset:         24
        .size:           8
        .value_kind:     global_buffer
      - .actual_access:  read_only
        .address_space:  global
        .offset:         32
        .size:           8
        .value_kind:     global_buffer
      - .offset:         40
        .size:           4
        .value_kind:     by_value
      - .actual_access:  write_only
        .address_space:  global
        .offset:         48
        .size:           8
        .value_kind:     global_buffer
    .group_segment_fixed_size: 1032
    .kernarg_segment_align: 8
    .kernarg_segment_size: 56
    .language:       OpenCL C
    .language_version:
      - 2
      - 0
    .max_flat_workgroup_size: 256
    .name:           _ZN9rocsparseL42csr2bsr_nnz_block_per_row_multipass_kernelILj256ELj64EiiEEvT2_S1_S1_S1_S1_21rocsparse_index_base_PKT1_PKS1_S2_PS3_
    .private_segment_fixed_size: 0
    .sgpr_count:     23
    .sgpr_spill_count: 0
    .symbol:         _ZN9rocsparseL42csr2bsr_nnz_block_per_row_multipass_kernelILj256ELj64EiiEEvT2_S1_S1_S1_S1_21rocsparse_index_base_PKT1_PKS1_S2_PS3_.kd
    .uniform_work_group_size: 1
    .uses_dynamic_stack: false
    .vgpr_count:     19
    .vgpr_spill_count: 0
    .wavefront_size: 32
    .workgroup_processor_mode: 1
  - .args:
      - .offset:         0
        .size:           4
        .value_kind:     by_value
      - .offset:         4
        .size:           4
        .value_kind:     by_value
      - .offset:         8
        .size:           4
        .value_kind:     by_value
      - .offset:         12
        .size:           4
        .value_kind:     by_value
      - .offset:         16
        .size:           4
        .value_kind:     by_value
      - .offset:         20
        .size:           4
        .value_kind:     by_value
      - .offset:         24
        .size:           4
        .value_kind:     by_value
      - .actual_access:  read_only
        .address_space:  global
        .offset:         32
        .size:           8
        .value_kind:     global_buffer
      - .actual_access:  read_only
        .address_space:  global
        .offset:         40
        .size:           8
        .value_kind:     global_buffer
      - .offset:         48
        .size:           4
        .value_kind:     by_value
      - .actual_access:  write_only
        .address_space:  global
        .offset:         56
        .size:           8
        .value_kind:     global_buffer
      - .address_space:  global
        .offset:         64
        .size:           8
        .value_kind:     global_buffer
    .group_segment_fixed_size: 0
    .kernarg_segment_align: 8
    .kernarg_segment_size: 72
    .language:       OpenCL C
    .language_version:
      - 2
      - 0
    .max_flat_workgroup_size: 32
    .name:           _ZN9rocsparseL25csr2bsr_nnz_65_inf_kernelILj32EiiEEvT1_S1_S1_S1_S1_S1_21rocsparse_index_base_PKT0_PKS1_S2_PS3_S8_
    .private_segment_fixed_size: 0
    .sgpr_count:     27
    .sgpr_spill_count: 0
    .symbol:         _ZN9rocsparseL25csr2bsr_nnz_65_inf_kernelILj32EiiEEvT1_S1_S1_S1_S1_S1_21rocsparse_index_base_PKT0_PKS1_S2_PS3_S8_.kd
    .uniform_work_group_size: 1
    .uses_dynamic_stack: false
    .vgpr_count:     26
    .vgpr_spill_count: 0
    .wavefront_size: 32
    .workgroup_processor_mode: 1
  - .args:
      - .offset:         0
        .size:           4
        .value_kind:     by_value
      - .actual_access:  read_only
        .address_space:  global
        .offset:         8
        .size:           8
        .value_kind:     global_buffer
      - .actual_access:  write_only
        .address_space:  global
        .offset:         16
        .size:           8
        .value_kind:     global_buffer
    .group_segment_fixed_size: 0
    .kernarg_segment_align: 8
    .kernarg_segment_size: 24
    .language:       OpenCL C
    .language_version:
      - 2
      - 0
    .max_flat_workgroup_size: 1
    .name:           _ZN9rocsparseL36csr2bsr_nnz_compute_nnz_total_kernelILj1EiiEEvT1_PKT0_PS2_
    .private_segment_fixed_size: 0
    .sgpr_count:     16
    .sgpr_spill_count: 0
    .symbol:         _ZN9rocsparseL36csr2bsr_nnz_compute_nnz_total_kernelILj1EiiEEvT1_PKT0_PS2_.kd
    .uniform_work_group_size: 1
    .uses_dynamic_stack: false
    .vgpr_count:     2
    .vgpr_spill_count: 0
    .wavefront_size: 32
    .workgroup_processor_mode: 1
  - .args:
      - .offset:         0
        .size:           4
        .value_kind:     by_value
      - .offset:         4
        .size:           4
        .value_kind:     by_value
      - .actual_access:  read_only
        .address_space:  global
        .offset:         8
        .size:           8
        .value_kind:     global_buffer
      - .offset:         16
        .size:           4
        .value_kind:     by_value
      - .actual_access:  write_only
        .address_space:  global
        .offset:         24
        .size:           8
        .value_kind:     global_buffer
      - .actual_access:  write_only
        .address_space:  global
        .offset:         32
        .size:           8
        .value_kind:     global_buffer
      - .offset:         40
        .size:           4
        .value_kind:     hidden_block_count_x
      - .offset:         44
        .size:           4
        .value_kind:     hidden_block_count_y
      - .offset:         48
        .size:           4
        .value_kind:     hidden_block_count_z
      - .offset:         52
        .size:           2
        .value_kind:     hidden_group_size_x
      - .offset:         54
        .size:           2
        .value_kind:     hidden_group_size_y
      - .offset:         56
        .size:           2
        .value_kind:     hidden_group_size_z
      - .offset:         58
        .size:           2
        .value_kind:     hidden_remainder_x
      - .offset:         60
        .size:           2
        .value_kind:     hidden_remainder_y
      - .offset:         62
        .size:           2
        .value_kind:     hidden_remainder_z
      - .offset:         80
        .size:           8
        .value_kind:     hidden_global_offset_x
      - .offset:         88
        .size:           8
        .value_kind:     hidden_global_offset_y
      - .offset:         96
        .size:           8
        .value_kind:     hidden_global_offset_z
      - .offset:         104
        .size:           2
        .value_kind:     hidden_grid_dims
    .group_segment_fixed_size: 0
    .kernarg_segment_align: 8
    .kernarg_segment_size: 296
    .language:       OpenCL C
    .language_version:
      - 2
      - 0
    .max_flat_workgroup_size: 256
    .name:           _ZN9rocsparseL39csr2bsr_nnz_block_dim_equals_one_kernelILj256EliEEvT1_21rocsparse_index_base_PKT0_S2_PS3_S6_
    .private_segment_fixed_size: 0
    .sgpr_count:     18
    .sgpr_spill_count: 0
    .symbol:         _ZN9rocsparseL39csr2bsr_nnz_block_dim_equals_one_kernelILj256EliEEvT1_21rocsparse_index_base_PKT0_S2_PS3_S6_.kd
    .uniform_work_group_size: 1
    .uses_dynamic_stack: false
    .vgpr_count:     6
    .vgpr_spill_count: 0
    .wavefront_size: 32
    .workgroup_processor_mode: 1
  - .args:
      - .offset:         0
        .size:           4
        .value_kind:     by_value
      - .offset:         4
        .size:           4
        .value_kind:     by_value
      - .actual_access:  read_only
        .address_space:  global
        .offset:         8
        .size:           8
        .value_kind:     global_buffer
      - .offset:         16
        .size:           4
        .value_kind:     by_value
      - .actual_access:  write_only
        .address_space:  global
        .offset:         24
        .size:           8
        .value_kind:     global_buffer
    .group_segment_fixed_size: 0
    .kernarg_segment_align: 8
    .kernarg_segment_size: 32
    .language:       OpenCL C
    .language_version:
      - 2
      - 0
    .max_flat_workgroup_size: 256
    .name:           _ZN9rocsparseL39csr2bsr_nnz_block_dim_equals_one_kernelILj256EliEEvT1_21rocsparse_index_base_PKT0_S2_PS3_
    .private_segment_fixed_size: 0
    .sgpr_count:     18
    .sgpr_spill_count: 0
    .symbol:         _ZN9rocsparseL39csr2bsr_nnz_block_dim_equals_one_kernelILj256EliEEvT1_21rocsparse_index_base_PKT0_S2_PS3_.kd
    .uniform_work_group_size: 1
    .uses_dynamic_stack: false
    .vgpr_count:     4
    .vgpr_spill_count: 0
    .wavefront_size: 32
    .workgroup_processor_mode: 1
  - .args:
      - .offset:         0
        .size:           4
        .value_kind:     by_value
      - .offset:         4
        .size:           4
        .value_kind:     by_value
      - .offset:         8
        .size:           4
        .value_kind:     by_value
      - .offset:         12
        .size:           4
        .value_kind:     by_value
      - .offset:         16
        .size:           4
        .value_kind:     by_value
      - .offset:         20
        .size:           4
        .value_kind:     by_value
      - .actual_access:  read_only
        .address_space:  global
        .offset:         24
        .size:           8
        .value_kind:     global_buffer
      - .actual_access:  read_only
        .address_space:  global
        .offset:         32
        .size:           8
        .value_kind:     global_buffer
      - .offset:         40
        .size:           4
        .value_kind:     by_value
      - .actual_access:  write_only
        .address_space:  global
        .offset:         48
        .size:           8
        .value_kind:     global_buffer
    .group_segment_fixed_size: 80
    .kernarg_segment_align: 8
    .kernarg_segment_size: 56
    .language:       OpenCL C
    .language_version:
      - 2
      - 0
    .max_flat_workgroup_size: 256
    .name:           _ZN9rocsparseL46csr2bsr_nnz_wavefront_per_row_multipass_kernelILj256ELj16ELj4EliEEvT3_S1_S1_S1_S1_21rocsparse_index_base_PKT2_PKS1_S2_PS3_
    .private_segment_fixed_size: 0
    .sgpr_count:     18
    .sgpr_spill_count: 0
    .symbol:         _ZN9rocsparseL46csr2bsr_nnz_wavefront_per_row_multipass_kernelILj256ELj16ELj4EliEEvT3_S1_S1_S1_S1_21rocsparse_index_base_PKT2_PKS1_S2_PS3_.kd
    .uniform_work_group_size: 1
    .uses_dynamic_stack: false
    .vgpr_count:     30
    .vgpr_spill_count: 0
    .wavefront_size: 32
    .workgroup_processor_mode: 1
  - .args:
      - .offset:         0
        .size:           4
        .value_kind:     by_value
      - .offset:         4
        .size:           4
        .value_kind:     by_value
      - .offset:         8
        .size:           4
        .value_kind:     by_value
      - .offset:         12
        .size:           4
        .value_kind:     by_value
      - .offset:         16
        .size:           4
        .value_kind:     by_value
      - .offset:         20
        .size:           4
        .value_kind:     by_value
      - .actual_access:  read_only
        .address_space:  global
        .offset:         24
        .size:           8
        .value_kind:     global_buffer
      - .actual_access:  read_only
        .address_space:  global
        .offset:         32
        .size:           8
        .value_kind:     global_buffer
      - .offset:         40
        .size:           4
        .value_kind:     by_value
      - .actual_access:  write_only
        .address_space:  global
        .offset:         48
        .size:           8
        .value_kind:     global_buffer
    .group_segment_fixed_size: 20
    .kernarg_segment_align: 8
    .kernarg_segment_size: 56
    .language:       OpenCL C
    .language_version:
      - 2
      - 0
    .max_flat_workgroup_size: 256
    .name:           _ZN9rocsparseL46csr2bsr_nnz_wavefront_per_row_multipass_kernelILj256ELj64ELj8EliEEvT3_S1_S1_S1_S1_21rocsparse_index_base_PKT2_PKS1_S2_PS3_
    .private_segment_fixed_size: 0
    .sgpr_count:     18
    .sgpr_spill_count: 0
    .symbol:         _ZN9rocsparseL46csr2bsr_nnz_wavefront_per_row_multipass_kernelILj256ELj64ELj8EliEEvT3_S1_S1_S1_S1_21rocsparse_index_base_PKT2_PKS1_S2_PS3_.kd
    .uniform_work_group_size: 1
    .uses_dynamic_stack: false
    .vgpr_count:     32
    .vgpr_spill_count: 0
    .wavefront_size: 32
    .workgroup_processor_mode: 1
  - .args:
      - .offset:         0
        .size:           4
        .value_kind:     by_value
      - .offset:         4
        .size:           4
        .value_kind:     by_value
      - .offset:         8
        .size:           4
        .value_kind:     by_value
      - .offset:         12
        .size:           4
        .value_kind:     by_value
      - .offset:         16
        .size:           4
        .value_kind:     by_value
      - .offset:         20
        .size:           4
        .value_kind:     by_value
      - .actual_access:  read_only
        .address_space:  global
        .offset:         24
        .size:           8
        .value_kind:     global_buffer
      - .actual_access:  read_only
        .address_space:  global
        .offset:         32
        .size:           8
        .value_kind:     global_buffer
      - .offset:         40
        .size:           4
        .value_kind:     by_value
      - .actual_access:  write_only
        .address_space:  global
        .offset:         48
        .size:           8
        .value_kind:     global_buffer
    .group_segment_fixed_size: 40
    .kernarg_segment_align: 8
    .kernarg_segment_size: 56
    .language:       OpenCL C
    .language_version:
      - 2
      - 0
    .max_flat_workgroup_size: 256
    .name:           _ZN9rocsparseL46csr2bsr_nnz_wavefront_per_row_multipass_kernelILj256ELj32ELj8EliEEvT3_S1_S1_S1_S1_21rocsparse_index_base_PKT2_PKS1_S2_PS3_
    .private_segment_fixed_size: 0
    .sgpr_count:     18
    .sgpr_spill_count: 0
    .symbol:         _ZN9rocsparseL46csr2bsr_nnz_wavefront_per_row_multipass_kernelILj256ELj32ELj8EliEEvT3_S1_S1_S1_S1_21rocsparse_index_base_PKT2_PKS1_S2_PS3_.kd
    .uniform_work_group_size: 1
    .uses_dynamic_stack: false
    .vgpr_count:     31
    .vgpr_spill_count: 0
    .wavefront_size: 32
    .workgroup_processor_mode: 1
  - .args:
      - .offset:         0
        .size:           4
        .value_kind:     by_value
      - .offset:         4
        .size:           4
        .value_kind:     by_value
      - .offset:         8
        .size:           4
        .value_kind:     by_value
      - .offset:         12
        .size:           4
        .value_kind:     by_value
      - .offset:         16
        .size:           4
        .value_kind:     by_value
      - .offset:         20
        .size:           4
        .value_kind:     by_value
      - .actual_access:  read_only
        .address_space:  global
        .offset:         24
        .size:           8
        .value_kind:     global_buffer
      - .actual_access:  read_only
        .address_space:  global
        .offset:         32
        .size:           8
        .value_kind:     global_buffer
      - .offset:         40
        .size:           4
        .value_kind:     by_value
      - .actual_access:  write_only
        .address_space:  global
        .offset:         48
        .size:           8
        .value_kind:     global_buffer
    .group_segment_fixed_size: 20
    .kernarg_segment_align: 8
    .kernarg_segment_size: 56
    .language:       OpenCL C
    .language_version:
      - 2
      - 0
    .max_flat_workgroup_size: 256
    .name:           _ZN9rocsparseL46csr2bsr_nnz_wavefront_per_row_multipass_kernelILj256ELj64ELj16EliEEvT3_S1_S1_S1_S1_21rocsparse_index_base_PKT2_PKS1_S2_PS3_
    .private_segment_fixed_size: 0
    .sgpr_count:     18
    .sgpr_spill_count: 0
    .symbol:         _ZN9rocsparseL46csr2bsr_nnz_wavefront_per_row_multipass_kernelILj256ELj64ELj16EliEEvT3_S1_S1_S1_S1_21rocsparse_index_base_PKT2_PKS1_S2_PS3_.kd
    .uniform_work_group_size: 1
    .uses_dynamic_stack: false
    .vgpr_count:     32
    .vgpr_spill_count: 0
    .wavefront_size: 32
    .workgroup_processor_mode: 1
  - .args:
      - .offset:         0
        .size:           4
        .value_kind:     by_value
      - .offset:         4
        .size:           4
        .value_kind:     by_value
      - .offset:         8
        .size:           4
        .value_kind:     by_value
      - .offset:         12
        .size:           4
        .value_kind:     by_value
      - .offset:         16
        .size:           4
        .value_kind:     by_value
      - .offset:         20
        .size:           4
        .value_kind:     by_value
      - .actual_access:  read_only
        .address_space:  global
        .offset:         24
        .size:           8
        .value_kind:     global_buffer
      - .actual_access:  read_only
        .address_space:  global
        .offset:         32
        .size:           8
        .value_kind:     global_buffer
      - .offset:         40
        .size:           4
        .value_kind:     by_value
      - .actual_access:  write_only
        .address_space:  global
        .offset:         48
        .size:           8
        .value_kind:     global_buffer
    .group_segment_fixed_size: 40
    .kernarg_segment_align: 8
    .kernarg_segment_size: 56
    .language:       OpenCL C
    .language_version:
      - 2
      - 0
    .max_flat_workgroup_size: 256
    .name:           _ZN9rocsparseL46csr2bsr_nnz_wavefront_per_row_multipass_kernelILj256ELj32ELj16EliEEvT3_S1_S1_S1_S1_21rocsparse_index_base_PKT2_PKS1_S2_PS3_
    .private_segment_fixed_size: 0
    .sgpr_count:     18
    .sgpr_spill_count: 0
    .symbol:         _ZN9rocsparseL46csr2bsr_nnz_wavefront_per_row_multipass_kernelILj256ELj32ELj16EliEEvT3_S1_S1_S1_S1_21rocsparse_index_base_PKT2_PKS1_S2_PS3_.kd
    .uniform_work_group_size: 1
    .uses_dynamic_stack: false
    .vgpr_count:     31
    .vgpr_spill_count: 0
    .wavefront_size: 32
    .workgroup_processor_mode: 1
  - .args:
      - .offset:         0
        .size:           4
        .value_kind:     by_value
      - .offset:         4
        .size:           4
        .value_kind:     by_value
      - .offset:         8
        .size:           4
        .value_kind:     by_value
      - .offset:         12
        .size:           4
        .value_kind:     by_value
      - .offset:         16
        .size:           4
        .value_kind:     by_value
      - .offset:         20
        .size:           4
        .value_kind:     by_value
      - .actual_access:  read_only
        .address_space:  global
        .offset:         24
        .size:           8
        .value_kind:     global_buffer
      - .actual_access:  read_only
        .address_space:  global
        .offset:         32
        .size:           8
        .value_kind:     global_buffer
      - .offset:         40
        .size:           4
        .value_kind:     by_value
      - .actual_access:  write_only
        .address_space:  global
        .offset:         48
        .size:           8
        .value_kind:     global_buffer
    .group_segment_fixed_size: 1032
    .kernarg_segment_align: 8
    .kernarg_segment_size: 56
    .language:       OpenCL C
    .language_version:
      - 2
      - 0
    .max_flat_workgroup_size: 256
    .name:           _ZN9rocsparseL42csr2bsr_nnz_block_per_row_multipass_kernelILj256ELj32EliEEvT2_S1_S1_S1_S1_21rocsparse_index_base_PKT1_PKS1_S2_PS3_
    .private_segment_fixed_size: 0
    .sgpr_count:     23
    .sgpr_spill_count: 0
    .symbol:         _ZN9rocsparseL42csr2bsr_nnz_block_per_row_multipass_kernelILj256ELj32EliEEvT2_S1_S1_S1_S1_21rocsparse_index_base_PKT1_PKS1_S2_PS3_.kd
    .uniform_work_group_size: 1
    .uses_dynamic_stack: false
    .vgpr_count:     26
    .vgpr_spill_count: 0
    .wavefront_size: 32
    .workgroup_processor_mode: 1
  - .args:
      - .offset:         0
        .size:           4
        .value_kind:     by_value
      - .offset:         4
        .size:           4
        .value_kind:     by_value
      - .offset:         8
        .size:           4
        .value_kind:     by_value
      - .offset:         12
        .size:           4
        .value_kind:     by_value
      - .offset:         16
        .size:           4
        .value_kind:     by_value
      - .offset:         20
        .size:           4
        .value_kind:     by_value
      - .actual_access:  read_only
        .address_space:  global
        .offset:         24
        .size:           8
        .value_kind:     global_buffer
      - .actual_access:  read_only
        .address_space:  global
        .offset:         32
        .size:           8
        .value_kind:     global_buffer
      - .offset:         40
        .size:           4
        .value_kind:     by_value
      - .actual_access:  write_only
        .address_space:  global
        .offset:         48
        .size:           8
        .value_kind:     global_buffer
    .group_segment_fixed_size: 1032
    .kernarg_segment_align: 8
    .kernarg_segment_size: 56
    .language:       OpenCL C
    .language_version:
      - 2
      - 0
    .max_flat_workgroup_size: 256
    .name:           _ZN9rocsparseL42csr2bsr_nnz_block_per_row_multipass_kernelILj256ELj64EliEEvT2_S1_S1_S1_S1_21rocsparse_index_base_PKT1_PKS1_S2_PS3_
    .private_segment_fixed_size: 0
    .sgpr_count:     23
    .sgpr_spill_count: 0
    .symbol:         _ZN9rocsparseL42csr2bsr_nnz_block_per_row_multipass_kernelILj256ELj64EliEEvT2_S1_S1_S1_S1_21rocsparse_index_base_PKT1_PKS1_S2_PS3_.kd
    .uniform_work_group_size: 1
    .uses_dynamic_stack: false
    .vgpr_count:     25
    .vgpr_spill_count: 0
    .wavefront_size: 32
    .workgroup_processor_mode: 1
  - .args:
      - .offset:         0
        .size:           4
        .value_kind:     by_value
      - .offset:         4
        .size:           4
        .value_kind:     by_value
      - .offset:         8
        .size:           4
        .value_kind:     by_value
      - .offset:         12
        .size:           4
        .value_kind:     by_value
      - .offset:         16
        .size:           4
        .value_kind:     by_value
      - .offset:         20
        .size:           4
        .value_kind:     by_value
      - .offset:         24
        .size:           4
        .value_kind:     by_value
      - .actual_access:  read_only
        .address_space:  global
        .offset:         32
        .size:           8
        .value_kind:     global_buffer
      - .actual_access:  read_only
        .address_space:  global
        .offset:         40
        .size:           8
        .value_kind:     global_buffer
      - .offset:         48
        .size:           4
        .value_kind:     by_value
      - .actual_access:  write_only
        .address_space:  global
        .offset:         56
        .size:           8
        .value_kind:     global_buffer
      - .address_space:  global
        .offset:         64
        .size:           8
        .value_kind:     global_buffer
    .group_segment_fixed_size: 0
    .kernarg_segment_align: 8
    .kernarg_segment_size: 72
    .language:       OpenCL C
    .language_version:
      - 2
      - 0
    .max_flat_workgroup_size: 32
    .name:           _ZN9rocsparseL25csr2bsr_nnz_65_inf_kernelILj32EliEEvT1_S1_S1_S1_S1_S1_21rocsparse_index_base_PKT0_PKS1_S2_PS3_S8_
    .private_segment_fixed_size: 0
    .sgpr_count:     27
    .sgpr_spill_count: 0
    .symbol:         _ZN9rocsparseL25csr2bsr_nnz_65_inf_kernelILj32EliEEvT1_S1_S1_S1_S1_S1_21rocsparse_index_base_PKT0_PKS1_S2_PS3_S8_.kd
    .uniform_work_group_size: 1
    .uses_dynamic_stack: false
    .vgpr_count:     28
    .vgpr_spill_count: 0
    .wavefront_size: 32
    .workgroup_processor_mode: 1
  - .args:
      - .offset:         0
        .size:           4
        .value_kind:     by_value
      - .actual_access:  read_only
        .address_space:  global
        .offset:         8
        .size:           8
        .value_kind:     global_buffer
      - .actual_access:  write_only
        .address_space:  global
        .offset:         16
        .size:           8
        .value_kind:     global_buffer
    .group_segment_fixed_size: 0
    .kernarg_segment_align: 8
    .kernarg_segment_size: 24
    .language:       OpenCL C
    .language_version:
      - 2
      - 0
    .max_flat_workgroup_size: 1
    .name:           _ZN9rocsparseL36csr2bsr_nnz_compute_nnz_total_kernelILj1EliEEvT1_PKT0_PS2_
    .private_segment_fixed_size: 0
    .sgpr_count:     16
    .sgpr_spill_count: 0
    .symbol:         _ZN9rocsparseL36csr2bsr_nnz_compute_nnz_total_kernelILj1EliEEvT1_PKT0_PS2_.kd
    .uniform_work_group_size: 1
    .uses_dynamic_stack: false
    .vgpr_count:     3
    .vgpr_spill_count: 0
    .wavefront_size: 32
    .workgroup_processor_mode: 1
  - .args:
      - .offset:         0
        .size:           8
        .value_kind:     by_value
      - .offset:         8
        .size:           4
        .value_kind:     by_value
      - .actual_access:  read_only
        .address_space:  global
        .offset:         16
        .size:           8
        .value_kind:     global_buffer
      - .offset:         24
        .size:           4
        .value_kind:     by_value
      - .actual_access:  write_only
        .address_space:  global
        .offset:         32
        .size:           8
        .value_kind:     global_buffer
      - .actual_access:  write_only
        .address_space:  global
        .offset:         40
        .size:           8
        .value_kind:     global_buffer
      - .offset:         48
        .size:           4
        .value_kind:     hidden_block_count_x
      - .offset:         52
        .size:           4
        .value_kind:     hidden_block_count_y
      - .offset:         56
        .size:           4
        .value_kind:     hidden_block_count_z
      - .offset:         60
        .size:           2
        .value_kind:     hidden_group_size_x
      - .offset:         62
        .size:           2
        .value_kind:     hidden_group_size_y
      - .offset:         64
        .size:           2
        .value_kind:     hidden_group_size_z
      - .offset:         66
        .size:           2
        .value_kind:     hidden_remainder_x
      - .offset:         68
        .size:           2
        .value_kind:     hidden_remainder_y
      - .offset:         70
        .size:           2
        .value_kind:     hidden_remainder_z
      - .offset:         88
        .size:           8
        .value_kind:     hidden_global_offset_x
      - .offset:         96
        .size:           8
        .value_kind:     hidden_global_offset_y
      - .offset:         104
        .size:           8
        .value_kind:     hidden_global_offset_z
      - .offset:         112
        .size:           2
        .value_kind:     hidden_grid_dims
    .group_segment_fixed_size: 0
    .kernarg_segment_align: 8
    .kernarg_segment_size: 304
    .language:       OpenCL C
    .language_version:
      - 2
      - 0
    .max_flat_workgroup_size: 256
    .name:           _ZN9rocsparseL39csr2bsr_nnz_block_dim_equals_one_kernelILj256EilEEvT1_21rocsparse_index_base_PKT0_S2_PS3_S6_
    .private_segment_fixed_size: 0
    .sgpr_count:     18
    .sgpr_spill_count: 0
    .symbol:         _ZN9rocsparseL39csr2bsr_nnz_block_dim_equals_one_kernelILj256EilEEvT1_21rocsparse_index_base_PKT0_S2_PS3_S6_.kd
    .uniform_work_group_size: 1
    .uses_dynamic_stack: false
    .vgpr_count:     6
    .vgpr_spill_count: 0
    .wavefront_size: 32
    .workgroup_processor_mode: 1
  - .args:
      - .offset:         0
        .size:           8
        .value_kind:     by_value
      - .offset:         8
        .size:           4
        .value_kind:     by_value
      - .actual_access:  read_only
        .address_space:  global
        .offset:         16
        .size:           8
        .value_kind:     global_buffer
      - .offset:         24
        .size:           4
        .value_kind:     by_value
      - .actual_access:  write_only
        .address_space:  global
        .offset:         32
        .size:           8
        .value_kind:     global_buffer
    .group_segment_fixed_size: 0
    .kernarg_segment_align: 8
    .kernarg_segment_size: 40
    .language:       OpenCL C
    .language_version:
      - 2
      - 0
    .max_flat_workgroup_size: 256
    .name:           _ZN9rocsparseL39csr2bsr_nnz_block_dim_equals_one_kernelILj256EilEEvT1_21rocsparse_index_base_PKT0_S2_PS3_
    .private_segment_fixed_size: 0
    .sgpr_count:     18
    .sgpr_spill_count: 0
    .symbol:         _ZN9rocsparseL39csr2bsr_nnz_block_dim_equals_one_kernelILj256EilEEvT1_21rocsparse_index_base_PKT0_S2_PS3_.kd
    .uniform_work_group_size: 1
    .uses_dynamic_stack: false
    .vgpr_count:     4
    .vgpr_spill_count: 0
    .wavefront_size: 32
    .workgroup_processor_mode: 1
  - .args:
      - .offset:         0
        .size:           8
        .value_kind:     by_value
      - .offset:         8
        .size:           8
        .value_kind:     by_value
      - .offset:         16
        .size:           8
        .value_kind:     by_value
      - .offset:         24
        .size:           8
        .value_kind:     by_value
      - .offset:         32
        .size:           8
        .value_kind:     by_value
      - .offset:         40
        .size:           4
        .value_kind:     by_value
      - .actual_access:  read_only
        .address_space:  global
        .offset:         48
        .size:           8
        .value_kind:     global_buffer
      - .actual_access:  read_only
        .address_space:  global
        .offset:         56
        .size:           8
        .value_kind:     global_buffer
      - .offset:         64
        .size:           4
        .value_kind:     by_value
      - .actual_access:  write_only
        .address_space:  global
        .offset:         72
        .size:           8
        .value_kind:     global_buffer
    .group_segment_fixed_size: 144
    .kernarg_segment_align: 8
    .kernarg_segment_size: 80
    .language:       OpenCL C
    .language_version:
      - 2
      - 0
    .max_flat_workgroup_size: 256
    .name:           _ZN9rocsparseL46csr2bsr_nnz_wavefront_per_row_multipass_kernelILj256ELj16ELj4EilEEvT3_S1_S1_S1_S1_21rocsparse_index_base_PKT2_PKS1_S2_PS3_
    .private_segment_fixed_size: 0
    .sgpr_count:     24
    .sgpr_spill_count: 0
    .symbol:         _ZN9rocsparseL46csr2bsr_nnz_wavefront_per_row_multipass_kernelILj256ELj16ELj4EilEEvT3_S1_S1_S1_S1_21rocsparse_index_base_PKT2_PKS1_S2_PS3_.kd
    .uniform_work_group_size: 1
    .uses_dynamic_stack: false
    .vgpr_count:     32
    .vgpr_spill_count: 0
    .wavefront_size: 32
    .workgroup_processor_mode: 1
  - .args:
      - .offset:         0
        .size:           8
        .value_kind:     by_value
      - .offset:         8
        .size:           8
        .value_kind:     by_value
      - .offset:         16
        .size:           8
        .value_kind:     by_value
      - .offset:         24
        .size:           8
        .value_kind:     by_value
      - .offset:         32
        .size:           8
        .value_kind:     by_value
      - .offset:         40
        .size:           4
        .value_kind:     by_value
      - .actual_access:  read_only
        .address_space:  global
        .offset:         48
        .size:           8
        .value_kind:     global_buffer
      - .actual_access:  read_only
        .address_space:  global
        .offset:         56
        .size:           8
        .value_kind:     global_buffer
      - .offset:         64
        .size:           4
        .value_kind:     by_value
      - .actual_access:  write_only
        .address_space:  global
        .offset:         72
        .size:           8
        .value_kind:     global_buffer
    .group_segment_fixed_size: 40
    .kernarg_segment_align: 8
    .kernarg_segment_size: 80
    .language:       OpenCL C
    .language_version:
      - 2
      - 0
    .max_flat_workgroup_size: 256
    .name:           _ZN9rocsparseL46csr2bsr_nnz_wavefront_per_row_multipass_kernelILj256ELj64ELj8EilEEvT3_S1_S1_S1_S1_21rocsparse_index_base_PKT2_PKS1_S2_PS3_
    .private_segment_fixed_size: 0
    .sgpr_count:     24
    .sgpr_spill_count: 0
    .symbol:         _ZN9rocsparseL46csr2bsr_nnz_wavefront_per_row_multipass_kernelILj256ELj64ELj8EilEEvT3_S1_S1_S1_S1_21rocsparse_index_base_PKT2_PKS1_S2_PS3_.kd
    .uniform_work_group_size: 1
    .uses_dynamic_stack: false
    .vgpr_count:     34
    .vgpr_spill_count: 0
    .wavefront_size: 32
    .workgroup_processor_mode: 1
  - .args:
      - .offset:         0
        .size:           8
        .value_kind:     by_value
      - .offset:         8
        .size:           8
        .value_kind:     by_value
      - .offset:         16
        .size:           8
        .value_kind:     by_value
      - .offset:         24
        .size:           8
        .value_kind:     by_value
      - .offset:         32
        .size:           8
        .value_kind:     by_value
      - .offset:         40
        .size:           4
        .value_kind:     by_value
      - .actual_access:  read_only
        .address_space:  global
        .offset:         48
        .size:           8
        .value_kind:     global_buffer
      - .actual_access:  read_only
        .address_space:  global
        .offset:         56
        .size:           8
        .value_kind:     global_buffer
      - .offset:         64
        .size:           4
        .value_kind:     by_value
      - .actual_access:  write_only
        .address_space:  global
        .offset:         72
        .size:           8
        .value_kind:     global_buffer
    .group_segment_fixed_size: 72
    .kernarg_segment_align: 8
    .kernarg_segment_size: 80
    .language:       OpenCL C
    .language_version:
      - 2
      - 0
    .max_flat_workgroup_size: 256
    .name:           _ZN9rocsparseL46csr2bsr_nnz_wavefront_per_row_multipass_kernelILj256ELj32ELj8EilEEvT3_S1_S1_S1_S1_21rocsparse_index_base_PKT2_PKS1_S2_PS3_
    .private_segment_fixed_size: 0
    .sgpr_count:     24
    .sgpr_spill_count: 0
    .symbol:         _ZN9rocsparseL46csr2bsr_nnz_wavefront_per_row_multipass_kernelILj256ELj32ELj8EilEEvT3_S1_S1_S1_S1_21rocsparse_index_base_PKT2_PKS1_S2_PS3_.kd
    .uniform_work_group_size: 1
    .uses_dynamic_stack: false
    .vgpr_count:     33
    .vgpr_spill_count: 0
    .wavefront_size: 32
    .workgroup_processor_mode: 1
  - .args:
      - .offset:         0
        .size:           8
        .value_kind:     by_value
      - .offset:         8
        .size:           8
        .value_kind:     by_value
      - .offset:         16
        .size:           8
        .value_kind:     by_value
      - .offset:         24
        .size:           8
        .value_kind:     by_value
      - .offset:         32
        .size:           8
        .value_kind:     by_value
      - .offset:         40
        .size:           4
        .value_kind:     by_value
      - .actual_access:  read_only
        .address_space:  global
        .offset:         48
        .size:           8
        .value_kind:     global_buffer
      - .actual_access:  read_only
        .address_space:  global
        .offset:         56
        .size:           8
        .value_kind:     global_buffer
      - .offset:         64
        .size:           4
        .value_kind:     by_value
      - .actual_access:  write_only
        .address_space:  global
        .offset:         72
        .size:           8
        .value_kind:     global_buffer
    .group_segment_fixed_size: 40
    .kernarg_segment_align: 8
    .kernarg_segment_size: 80
    .language:       OpenCL C
    .language_version:
      - 2
      - 0
    .max_flat_workgroup_size: 256
    .name:           _ZN9rocsparseL46csr2bsr_nnz_wavefront_per_row_multipass_kernelILj256ELj64ELj16EilEEvT3_S1_S1_S1_S1_21rocsparse_index_base_PKT2_PKS1_S2_PS3_
    .private_segment_fixed_size: 0
    .sgpr_count:     24
    .sgpr_spill_count: 0
    .symbol:         _ZN9rocsparseL46csr2bsr_nnz_wavefront_per_row_multipass_kernelILj256ELj64ELj16EilEEvT3_S1_S1_S1_S1_21rocsparse_index_base_PKT2_PKS1_S2_PS3_.kd
    .uniform_work_group_size: 1
    .uses_dynamic_stack: false
    .vgpr_count:     34
    .vgpr_spill_count: 0
    .wavefront_size: 32
    .workgroup_processor_mode: 1
  - .args:
      - .offset:         0
        .size:           8
        .value_kind:     by_value
      - .offset:         8
        .size:           8
        .value_kind:     by_value
      - .offset:         16
        .size:           8
        .value_kind:     by_value
      - .offset:         24
        .size:           8
        .value_kind:     by_value
      - .offset:         32
        .size:           8
        .value_kind:     by_value
      - .offset:         40
        .size:           4
        .value_kind:     by_value
      - .actual_access:  read_only
        .address_space:  global
        .offset:         48
        .size:           8
        .value_kind:     global_buffer
      - .actual_access:  read_only
        .address_space:  global
        .offset:         56
        .size:           8
        .value_kind:     global_buffer
      - .offset:         64
        .size:           4
        .value_kind:     by_value
      - .actual_access:  write_only
        .address_space:  global
        .offset:         72
        .size:           8
        .value_kind:     global_buffer
    .group_segment_fixed_size: 72
    .kernarg_segment_align: 8
    .kernarg_segment_size: 80
    .language:       OpenCL C
    .language_version:
      - 2
      - 0
    .max_flat_workgroup_size: 256
    .name:           _ZN9rocsparseL46csr2bsr_nnz_wavefront_per_row_multipass_kernelILj256ELj32ELj16EilEEvT3_S1_S1_S1_S1_21rocsparse_index_base_PKT2_PKS1_S2_PS3_
    .private_segment_fixed_size: 0
    .sgpr_count:     24
    .sgpr_spill_count: 0
    .symbol:         _ZN9rocsparseL46csr2bsr_nnz_wavefront_per_row_multipass_kernelILj256ELj32ELj16EilEEvT3_S1_S1_S1_S1_21rocsparse_index_base_PKT2_PKS1_S2_PS3_.kd
    .uniform_work_group_size: 1
    .uses_dynamic_stack: false
    .vgpr_count:     33
    .vgpr_spill_count: 0
    .wavefront_size: 32
    .workgroup_processor_mode: 1
  - .args:
      - .offset:         0
        .size:           8
        .value_kind:     by_value
      - .offset:         8
        .size:           8
        .value_kind:     by_value
      - .offset:         16
        .size:           8
        .value_kind:     by_value
      - .offset:         24
        .size:           8
        .value_kind:     by_value
      - .offset:         32
        .size:           8
        .value_kind:     by_value
      - .offset:         40
        .size:           4
        .value_kind:     by_value
      - .actual_access:  read_only
        .address_space:  global
        .offset:         48
        .size:           8
        .value_kind:     global_buffer
      - .actual_access:  read_only
        .address_space:  global
        .offset:         56
        .size:           8
        .value_kind:     global_buffer
      - .offset:         64
        .size:           4
        .value_kind:     by_value
      - .actual_access:  write_only
        .address_space:  global
        .offset:         72
        .size:           8
        .value_kind:     global_buffer
    .group_segment_fixed_size: 2064
    .kernarg_segment_align: 8
    .kernarg_segment_size: 80
    .language:       OpenCL C
    .language_version:
      - 2
      - 0
    .max_flat_workgroup_size: 256
    .name:           _ZN9rocsparseL42csr2bsr_nnz_block_per_row_multipass_kernelILj256ELj32EilEEvT2_S1_S1_S1_S1_21rocsparse_index_base_PKT1_PKS1_S2_PS3_
    .private_segment_fixed_size: 0
    .sgpr_count:     29
    .sgpr_spill_count: 0
    .symbol:         _ZN9rocsparseL42csr2bsr_nnz_block_per_row_multipass_kernelILj256ELj32EilEEvT2_S1_S1_S1_S1_21rocsparse_index_base_PKT1_PKS1_S2_PS3_.kd
    .uniform_work_group_size: 1
    .uses_dynamic_stack: false
    .vgpr_count:     29
    .vgpr_spill_count: 0
    .wavefront_size: 32
    .workgroup_processor_mode: 1
  - .args:
      - .offset:         0
        .size:           8
        .value_kind:     by_value
      - .offset:         8
        .size:           8
        .value_kind:     by_value
      - .offset:         16
        .size:           8
        .value_kind:     by_value
      - .offset:         24
        .size:           8
        .value_kind:     by_value
      - .offset:         32
        .size:           8
        .value_kind:     by_value
      - .offset:         40
        .size:           4
        .value_kind:     by_value
      - .actual_access:  read_only
        .address_space:  global
        .offset:         48
        .size:           8
        .value_kind:     global_buffer
      - .actual_access:  read_only
        .address_space:  global
        .offset:         56
        .size:           8
        .value_kind:     global_buffer
      - .offset:         64
        .size:           4
        .value_kind:     by_value
      - .actual_access:  write_only
        .address_space:  global
        .offset:         72
        .size:           8
        .value_kind:     global_buffer
    .group_segment_fixed_size: 2064
    .kernarg_segment_align: 8
    .kernarg_segment_size: 80
    .language:       OpenCL C
    .language_version:
      - 2
      - 0
    .max_flat_workgroup_size: 256
    .name:           _ZN9rocsparseL42csr2bsr_nnz_block_per_row_multipass_kernelILj256ELj64EilEEvT2_S1_S1_S1_S1_21rocsparse_index_base_PKT1_PKS1_S2_PS3_
    .private_segment_fixed_size: 0
    .sgpr_count:     29
    .sgpr_spill_count: 0
    .symbol:         _ZN9rocsparseL42csr2bsr_nnz_block_per_row_multipass_kernelILj256ELj64EilEEvT2_S1_S1_S1_S1_21rocsparse_index_base_PKT1_PKS1_S2_PS3_.kd
    .uniform_work_group_size: 1
    .uses_dynamic_stack: false
    .vgpr_count:     28
    .vgpr_spill_count: 0
    .wavefront_size: 32
    .workgroup_processor_mode: 1
  - .args:
      - .offset:         0
        .size:           8
        .value_kind:     by_value
      - .offset:         8
        .size:           8
        .value_kind:     by_value
      - .offset:         16
        .size:           8
        .value_kind:     by_value
      - .offset:         24
        .size:           8
        .value_kind:     by_value
      - .offset:         32
        .size:           8
        .value_kind:     by_value
      - .offset:         40
        .size:           8
        .value_kind:     by_value
      - .offset:         48
        .size:           4
        .value_kind:     by_value
      - .actual_access:  read_only
        .address_space:  global
        .offset:         56
        .size:           8
        .value_kind:     global_buffer
      - .actual_access:  read_only
        .address_space:  global
        .offset:         64
        .size:           8
        .value_kind:     global_buffer
      - .offset:         72
        .size:           4
        .value_kind:     by_value
      - .actual_access:  write_only
        .address_space:  global
        .offset:         80
        .size:           8
        .value_kind:     global_buffer
      - .address_space:  global
        .offset:         88
        .size:           8
        .value_kind:     global_buffer
    .group_segment_fixed_size: 0
    .kernarg_segment_align: 8
    .kernarg_segment_size: 96
    .language:       OpenCL C
    .language_version:
      - 2
      - 0
    .max_flat_workgroup_size: 32
    .name:           _ZN9rocsparseL25csr2bsr_nnz_65_inf_kernelILj32EilEEvT1_S1_S1_S1_S1_S1_21rocsparse_index_base_PKT0_PKS1_S2_PS3_S8_
    .private_segment_fixed_size: 0
    .sgpr_count:     34
    .sgpr_spill_count: 0
    .symbol:         _ZN9rocsparseL25csr2bsr_nnz_65_inf_kernelILj32EilEEvT1_S1_S1_S1_S1_S1_21rocsparse_index_base_PKT0_PKS1_S2_PS3_S8_.kd
    .uniform_work_group_size: 1
    .uses_dynamic_stack: false
    .vgpr_count:     36
    .vgpr_spill_count: 0
    .wavefront_size: 32
    .workgroup_processor_mode: 1
  - .args:
      - .offset:         0
        .size:           8
        .value_kind:     by_value
      - .actual_access:  read_only
        .address_space:  global
        .offset:         8
        .size:           8
        .value_kind:     global_buffer
      - .actual_access:  write_only
        .address_space:  global
        .offset:         16
        .size:           8
        .value_kind:     global_buffer
    .group_segment_fixed_size: 0
    .kernarg_segment_align: 8
    .kernarg_segment_size: 24
    .language:       OpenCL C
    .language_version:
      - 2
      - 0
    .max_flat_workgroup_size: 1
    .name:           _ZN9rocsparseL36csr2bsr_nnz_compute_nnz_total_kernelILj1EilEEvT1_PKT0_PS2_
    .private_segment_fixed_size: 0
    .sgpr_count:     16
    .sgpr_spill_count: 0
    .symbol:         _ZN9rocsparseL36csr2bsr_nnz_compute_nnz_total_kernelILj1EilEEvT1_PKT0_PS2_.kd
    .uniform_work_group_size: 1
    .uses_dynamic_stack: false
    .vgpr_count:     2
    .vgpr_spill_count: 0
    .wavefront_size: 32
    .workgroup_processor_mode: 1
  - .args:
      - .offset:         0
        .size:           8
        .value_kind:     by_value
      - .offset:         8
        .size:           4
        .value_kind:     by_value
      - .actual_access:  read_only
        .address_space:  global
        .offset:         16
        .size:           8
        .value_kind:     global_buffer
      - .offset:         24
        .size:           4
        .value_kind:     by_value
      - .actual_access:  write_only
        .address_space:  global
        .offset:         32
        .size:           8
        .value_kind:     global_buffer
      - .actual_access:  write_only
        .address_space:  global
        .offset:         40
        .size:           8
        .value_kind:     global_buffer
      - .offset:         48
        .size:           4
        .value_kind:     hidden_block_count_x
      - .offset:         52
        .size:           4
        .value_kind:     hidden_block_count_y
      - .offset:         56
        .size:           4
        .value_kind:     hidden_block_count_z
      - .offset:         60
        .size:           2
        .value_kind:     hidden_group_size_x
      - .offset:         62
        .size:           2
        .value_kind:     hidden_group_size_y
      - .offset:         64
        .size:           2
        .value_kind:     hidden_group_size_z
      - .offset:         66
        .size:           2
        .value_kind:     hidden_remainder_x
      - .offset:         68
        .size:           2
        .value_kind:     hidden_remainder_y
      - .offset:         70
        .size:           2
        .value_kind:     hidden_remainder_z
      - .offset:         88
        .size:           8
        .value_kind:     hidden_global_offset_x
      - .offset:         96
        .size:           8
        .value_kind:     hidden_global_offset_y
      - .offset:         104
        .size:           8
        .value_kind:     hidden_global_offset_z
      - .offset:         112
        .size:           2
        .value_kind:     hidden_grid_dims
    .group_segment_fixed_size: 0
    .kernarg_segment_align: 8
    .kernarg_segment_size: 304
    .language:       OpenCL C
    .language_version:
      - 2
      - 0
    .max_flat_workgroup_size: 256
    .name:           _ZN9rocsparseL39csr2bsr_nnz_block_dim_equals_one_kernelILj256EllEEvT1_21rocsparse_index_base_PKT0_S2_PS3_S6_
    .private_segment_fixed_size: 0
    .sgpr_count:     18
    .sgpr_spill_count: 0
    .symbol:         _ZN9rocsparseL39csr2bsr_nnz_block_dim_equals_one_kernelILj256EllEEvT1_21rocsparse_index_base_PKT0_S2_PS3_S6_.kd
    .uniform_work_group_size: 1
    .uses_dynamic_stack: false
    .vgpr_count:     6
    .vgpr_spill_count: 0
    .wavefront_size: 32
    .workgroup_processor_mode: 1
  - .args:
      - .offset:         0
        .size:           8
        .value_kind:     by_value
      - .offset:         8
        .size:           4
        .value_kind:     by_value
      - .actual_access:  read_only
        .address_space:  global
        .offset:         16
        .size:           8
        .value_kind:     global_buffer
      - .offset:         24
        .size:           4
        .value_kind:     by_value
      - .actual_access:  write_only
        .address_space:  global
        .offset:         32
        .size:           8
        .value_kind:     global_buffer
    .group_segment_fixed_size: 0
    .kernarg_segment_align: 8
    .kernarg_segment_size: 40
    .language:       OpenCL C
    .language_version:
      - 2
      - 0
    .max_flat_workgroup_size: 256
    .name:           _ZN9rocsparseL39csr2bsr_nnz_block_dim_equals_one_kernelILj256EllEEvT1_21rocsparse_index_base_PKT0_S2_PS3_
    .private_segment_fixed_size: 0
    .sgpr_count:     18
    .sgpr_spill_count: 0
    .symbol:         _ZN9rocsparseL39csr2bsr_nnz_block_dim_equals_one_kernelILj256EllEEvT1_21rocsparse_index_base_PKT0_S2_PS3_.kd
    .uniform_work_group_size: 1
    .uses_dynamic_stack: false
    .vgpr_count:     4
    .vgpr_spill_count: 0
    .wavefront_size: 32
    .workgroup_processor_mode: 1
  - .args:
      - .offset:         0
        .size:           8
        .value_kind:     by_value
      - .offset:         8
        .size:           8
        .value_kind:     by_value
      - .offset:         16
        .size:           8
        .value_kind:     by_value
      - .offset:         24
        .size:           8
        .value_kind:     by_value
      - .offset:         32
        .size:           8
        .value_kind:     by_value
      - .offset:         40
        .size:           4
        .value_kind:     by_value
      - .actual_access:  read_only
        .address_space:  global
        .offset:         48
        .size:           8
        .value_kind:     global_buffer
      - .actual_access:  read_only
        .address_space:  global
        .offset:         56
        .size:           8
        .value_kind:     global_buffer
      - .offset:         64
        .size:           4
        .value_kind:     by_value
      - .actual_access:  write_only
        .address_space:  global
        .offset:         72
        .size:           8
        .value_kind:     global_buffer
    .group_segment_fixed_size: 144
    .kernarg_segment_align: 8
    .kernarg_segment_size: 80
    .language:       OpenCL C
    .language_version:
      - 2
      - 0
    .max_flat_workgroup_size: 256
    .name:           _ZN9rocsparseL46csr2bsr_nnz_wavefront_per_row_multipass_kernelILj256ELj16ELj4EllEEvT3_S1_S1_S1_S1_21rocsparse_index_base_PKT2_PKS1_S2_PS3_
    .private_segment_fixed_size: 0
    .sgpr_count:     25
    .sgpr_spill_count: 0
    .symbol:         _ZN9rocsparseL46csr2bsr_nnz_wavefront_per_row_multipass_kernelILj256ELj16ELj4EllEEvT3_S1_S1_S1_S1_21rocsparse_index_base_PKT2_PKS1_S2_PS3_.kd
    .uniform_work_group_size: 1
    .uses_dynamic_stack: false
    .vgpr_count:     36
    .vgpr_spill_count: 0
    .wavefront_size: 32
    .workgroup_processor_mode: 1
  - .args:
      - .offset:         0
        .size:           8
        .value_kind:     by_value
      - .offset:         8
        .size:           8
        .value_kind:     by_value
      - .offset:         16
        .size:           8
        .value_kind:     by_value
      - .offset:         24
        .size:           8
        .value_kind:     by_value
      - .offset:         32
        .size:           8
        .value_kind:     by_value
      - .offset:         40
        .size:           4
        .value_kind:     by_value
      - .actual_access:  read_only
        .address_space:  global
        .offset:         48
        .size:           8
        .value_kind:     global_buffer
      - .actual_access:  read_only
        .address_space:  global
        .offset:         56
        .size:           8
        .value_kind:     global_buffer
      - .offset:         64
        .size:           4
        .value_kind:     by_value
      - .actual_access:  write_only
        .address_space:  global
        .offset:         72
        .size:           8
        .value_kind:     global_buffer
    .group_segment_fixed_size: 40
    .kernarg_segment_align: 8
    .kernarg_segment_size: 80
    .language:       OpenCL C
    .language_version:
      - 2
      - 0
    .max_flat_workgroup_size: 256
    .name:           _ZN9rocsparseL46csr2bsr_nnz_wavefront_per_row_multipass_kernelILj256ELj64ELj8EllEEvT3_S1_S1_S1_S1_21rocsparse_index_base_PKT2_PKS1_S2_PS3_
    .private_segment_fixed_size: 0
    .sgpr_count:     25
    .sgpr_spill_count: 0
    .symbol:         _ZN9rocsparseL46csr2bsr_nnz_wavefront_per_row_multipass_kernelILj256ELj64ELj8EllEEvT3_S1_S1_S1_S1_21rocsparse_index_base_PKT2_PKS1_S2_PS3_.kd
    .uniform_work_group_size: 1
    .uses_dynamic_stack: false
    .vgpr_count:     38
    .vgpr_spill_count: 0
    .wavefront_size: 32
    .workgroup_processor_mode: 1
  - .args:
      - .offset:         0
        .size:           8
        .value_kind:     by_value
      - .offset:         8
        .size:           8
        .value_kind:     by_value
      - .offset:         16
        .size:           8
        .value_kind:     by_value
      - .offset:         24
        .size:           8
        .value_kind:     by_value
      - .offset:         32
        .size:           8
        .value_kind:     by_value
      - .offset:         40
        .size:           4
        .value_kind:     by_value
      - .actual_access:  read_only
        .address_space:  global
        .offset:         48
        .size:           8
        .value_kind:     global_buffer
      - .actual_access:  read_only
        .address_space:  global
        .offset:         56
        .size:           8
        .value_kind:     global_buffer
      - .offset:         64
        .size:           4
        .value_kind:     by_value
      - .actual_access:  write_only
        .address_space:  global
        .offset:         72
        .size:           8
        .value_kind:     global_buffer
    .group_segment_fixed_size: 72
    .kernarg_segment_align: 8
    .kernarg_segment_size: 80
    .language:       OpenCL C
    .language_version:
      - 2
      - 0
    .max_flat_workgroup_size: 256
    .name:           _ZN9rocsparseL46csr2bsr_nnz_wavefront_per_row_multipass_kernelILj256ELj32ELj8EllEEvT3_S1_S1_S1_S1_21rocsparse_index_base_PKT2_PKS1_S2_PS3_
    .private_segment_fixed_size: 0
    .sgpr_count:     25
    .sgpr_spill_count: 0
    .symbol:         _ZN9rocsparseL46csr2bsr_nnz_wavefront_per_row_multipass_kernelILj256ELj32ELj8EllEEvT3_S1_S1_S1_S1_21rocsparse_index_base_PKT2_PKS1_S2_PS3_.kd
    .uniform_work_group_size: 1
    .uses_dynamic_stack: false
    .vgpr_count:     37
    .vgpr_spill_count: 0
    .wavefront_size: 32
    .workgroup_processor_mode: 1
  - .args:
      - .offset:         0
        .size:           8
        .value_kind:     by_value
      - .offset:         8
        .size:           8
        .value_kind:     by_value
      - .offset:         16
        .size:           8
        .value_kind:     by_value
      - .offset:         24
        .size:           8
        .value_kind:     by_value
      - .offset:         32
        .size:           8
        .value_kind:     by_value
      - .offset:         40
        .size:           4
        .value_kind:     by_value
      - .actual_access:  read_only
        .address_space:  global
        .offset:         48
        .size:           8
        .value_kind:     global_buffer
      - .actual_access:  read_only
        .address_space:  global
        .offset:         56
        .size:           8
        .value_kind:     global_buffer
      - .offset:         64
        .size:           4
        .value_kind:     by_value
      - .actual_access:  write_only
        .address_space:  global
        .offset:         72
        .size:           8
        .value_kind:     global_buffer
    .group_segment_fixed_size: 40
    .kernarg_segment_align: 8
    .kernarg_segment_size: 80
    .language:       OpenCL C
    .language_version:
      - 2
      - 0
    .max_flat_workgroup_size: 256
    .name:           _ZN9rocsparseL46csr2bsr_nnz_wavefront_per_row_multipass_kernelILj256ELj64ELj16EllEEvT3_S1_S1_S1_S1_21rocsparse_index_base_PKT2_PKS1_S2_PS3_
    .private_segment_fixed_size: 0
    .sgpr_count:     25
    .sgpr_spill_count: 0
    .symbol:         _ZN9rocsparseL46csr2bsr_nnz_wavefront_per_row_multipass_kernelILj256ELj64ELj16EllEEvT3_S1_S1_S1_S1_21rocsparse_index_base_PKT2_PKS1_S2_PS3_.kd
    .uniform_work_group_size: 1
    .uses_dynamic_stack: false
    .vgpr_count:     38
    .vgpr_spill_count: 0
    .wavefront_size: 32
    .workgroup_processor_mode: 1
  - .args:
      - .offset:         0
        .size:           8
        .value_kind:     by_value
      - .offset:         8
        .size:           8
        .value_kind:     by_value
      - .offset:         16
        .size:           8
        .value_kind:     by_value
      - .offset:         24
        .size:           8
        .value_kind:     by_value
      - .offset:         32
        .size:           8
        .value_kind:     by_value
      - .offset:         40
        .size:           4
        .value_kind:     by_value
      - .actual_access:  read_only
        .address_space:  global
        .offset:         48
        .size:           8
        .value_kind:     global_buffer
      - .actual_access:  read_only
        .address_space:  global
        .offset:         56
        .size:           8
        .value_kind:     global_buffer
      - .offset:         64
        .size:           4
        .value_kind:     by_value
      - .actual_access:  write_only
        .address_space:  global
        .offset:         72
        .size:           8
        .value_kind:     global_buffer
    .group_segment_fixed_size: 72
    .kernarg_segment_align: 8
    .kernarg_segment_size: 80
    .language:       OpenCL C
    .language_version:
      - 2
      - 0
    .max_flat_workgroup_size: 256
    .name:           _ZN9rocsparseL46csr2bsr_nnz_wavefront_per_row_multipass_kernelILj256ELj32ELj16EllEEvT3_S1_S1_S1_S1_21rocsparse_index_base_PKT2_PKS1_S2_PS3_
    .private_segment_fixed_size: 0
    .sgpr_count:     25
    .sgpr_spill_count: 0
    .symbol:         _ZN9rocsparseL46csr2bsr_nnz_wavefront_per_row_multipass_kernelILj256ELj32ELj16EllEEvT3_S1_S1_S1_S1_21rocsparse_index_base_PKT2_PKS1_S2_PS3_.kd
    .uniform_work_group_size: 1
    .uses_dynamic_stack: false
    .vgpr_count:     37
    .vgpr_spill_count: 0
    .wavefront_size: 32
    .workgroup_processor_mode: 1
  - .args:
      - .offset:         0
        .size:           8
        .value_kind:     by_value
      - .offset:         8
        .size:           8
        .value_kind:     by_value
      - .offset:         16
        .size:           8
        .value_kind:     by_value
      - .offset:         24
        .size:           8
        .value_kind:     by_value
      - .offset:         32
        .size:           8
        .value_kind:     by_value
      - .offset:         40
        .size:           4
        .value_kind:     by_value
      - .actual_access:  read_only
        .address_space:  global
        .offset:         48
        .size:           8
        .value_kind:     global_buffer
      - .actual_access:  read_only
        .address_space:  global
        .offset:         56
        .size:           8
        .value_kind:     global_buffer
      - .offset:         64
        .size:           4
        .value_kind:     by_value
      - .actual_access:  write_only
        .address_space:  global
        .offset:         72
        .size:           8
        .value_kind:     global_buffer
    .group_segment_fixed_size: 2064
    .kernarg_segment_align: 8
    .kernarg_segment_size: 80
    .language:       OpenCL C
    .language_version:
      - 2
      - 0
    .max_flat_workgroup_size: 256
    .name:           _ZN9rocsparseL42csr2bsr_nnz_block_per_row_multipass_kernelILj256ELj32EllEEvT2_S1_S1_S1_S1_21rocsparse_index_base_PKT1_PKS1_S2_PS3_
    .private_segment_fixed_size: 0
    .sgpr_count:     29
    .sgpr_spill_count: 0
    .symbol:         _ZN9rocsparseL42csr2bsr_nnz_block_per_row_multipass_kernelILj256ELj32EllEEvT2_S1_S1_S1_S1_21rocsparse_index_base_PKT1_PKS1_S2_PS3_.kd
    .uniform_work_group_size: 1
    .uses_dynamic_stack: false
    .vgpr_count:     34
    .vgpr_spill_count: 0
    .wavefront_size: 32
    .workgroup_processor_mode: 1
  - .args:
      - .offset:         0
        .size:           8
        .value_kind:     by_value
      - .offset:         8
        .size:           8
        .value_kind:     by_value
      - .offset:         16
        .size:           8
        .value_kind:     by_value
      - .offset:         24
        .size:           8
        .value_kind:     by_value
      - .offset:         32
        .size:           8
        .value_kind:     by_value
      - .offset:         40
        .size:           4
        .value_kind:     by_value
      - .actual_access:  read_only
        .address_space:  global
        .offset:         48
        .size:           8
        .value_kind:     global_buffer
      - .actual_access:  read_only
        .address_space:  global
        .offset:         56
        .size:           8
        .value_kind:     global_buffer
      - .offset:         64
        .size:           4
        .value_kind:     by_value
      - .actual_access:  write_only
        .address_space:  global
        .offset:         72
        .size:           8
        .value_kind:     global_buffer
    .group_segment_fixed_size: 2064
    .kernarg_segment_align: 8
    .kernarg_segment_size: 80
    .language:       OpenCL C
    .language_version:
      - 2
      - 0
    .max_flat_workgroup_size: 256
    .name:           _ZN9rocsparseL42csr2bsr_nnz_block_per_row_multipass_kernelILj256ELj64EllEEvT2_S1_S1_S1_S1_21rocsparse_index_base_PKT1_PKS1_S2_PS3_
    .private_segment_fixed_size: 0
    .sgpr_count:     29
    .sgpr_spill_count: 0
    .symbol:         _ZN9rocsparseL42csr2bsr_nnz_block_per_row_multipass_kernelILj256ELj64EllEEvT2_S1_S1_S1_S1_21rocsparse_index_base_PKT1_PKS1_S2_PS3_.kd
    .uniform_work_group_size: 1
    .uses_dynamic_stack: false
    .vgpr_count:     33
    .vgpr_spill_count: 0
    .wavefront_size: 32
    .workgroup_processor_mode: 1
  - .args:
      - .offset:         0
        .size:           8
        .value_kind:     by_value
      - .offset:         8
        .size:           8
        .value_kind:     by_value
      - .offset:         16
        .size:           8
        .value_kind:     by_value
      - .offset:         24
        .size:           8
        .value_kind:     by_value
      - .offset:         32
        .size:           8
        .value_kind:     by_value
      - .offset:         40
        .size:           8
        .value_kind:     by_value
      - .offset:         48
        .size:           4
        .value_kind:     by_value
      - .actual_access:  read_only
        .address_space:  global
        .offset:         56
        .size:           8
        .value_kind:     global_buffer
      - .actual_access:  read_only
        .address_space:  global
        .offset:         64
        .size:           8
        .value_kind:     global_buffer
      - .offset:         72
        .size:           4
        .value_kind:     by_value
      - .actual_access:  write_only
        .address_space:  global
        .offset:         80
        .size:           8
        .value_kind:     global_buffer
      - .address_space:  global
        .offset:         88
        .size:           8
        .value_kind:     global_buffer
    .group_segment_fixed_size: 0
    .kernarg_segment_align: 8
    .kernarg_segment_size: 96
    .language:       OpenCL C
    .language_version:
      - 2
      - 0
    .max_flat_workgroup_size: 32
    .name:           _ZN9rocsparseL25csr2bsr_nnz_65_inf_kernelILj32EllEEvT1_S1_S1_S1_S1_S1_21rocsparse_index_base_PKT0_PKS1_S2_PS3_S8_
    .private_segment_fixed_size: 0
    .sgpr_count:     36
    .sgpr_spill_count: 0
    .symbol:         _ZN9rocsparseL25csr2bsr_nnz_65_inf_kernelILj32EllEEvT1_S1_S1_S1_S1_S1_21rocsparse_index_base_PKT0_PKS1_S2_PS3_S8_.kd
    .uniform_work_group_size: 1
    .uses_dynamic_stack: false
    .vgpr_count:     39
    .vgpr_spill_count: 0
    .wavefront_size: 32
    .workgroup_processor_mode: 1
  - .args:
      - .offset:         0
        .size:           8
        .value_kind:     by_value
      - .actual_access:  read_only
        .address_space:  global
        .offset:         8
        .size:           8
        .value_kind:     global_buffer
      - .actual_access:  write_only
        .address_space:  global
        .offset:         16
        .size:           8
        .value_kind:     global_buffer
    .group_segment_fixed_size: 0
    .kernarg_segment_align: 8
    .kernarg_segment_size: 24
    .language:       OpenCL C
    .language_version:
      - 2
      - 0
    .max_flat_workgroup_size: 1
    .name:           _ZN9rocsparseL36csr2bsr_nnz_compute_nnz_total_kernelILj1EllEEvT1_PKT0_PS2_
    .private_segment_fixed_size: 0
    .sgpr_count:     16
    .sgpr_spill_count: 0
    .symbol:         _ZN9rocsparseL36csr2bsr_nnz_compute_nnz_total_kernelILj1EllEEvT1_PKT0_PS2_.kd
    .uniform_work_group_size: 1
    .uses_dynamic_stack: false
    .vgpr_count:     3
    .vgpr_spill_count: 0
    .wavefront_size: 32
    .workgroup_processor_mode: 1
amdhsa.target:   amdgcn-amd-amdhsa--gfx1100
amdhsa.version:
  - 1
  - 2
...

	.end_amdgpu_metadata
